;; amdgpu-corpus repo=ROCm/rocFFT kind=compiled arch=gfx906 opt=O3
	.text
	.amdgcn_target "amdgcn-amd-amdhsa--gfx906"
	.amdhsa_code_object_version 6
	.protected	bluestein_single_fwd_len306_dim1_dp_op_CI_CI ; -- Begin function bluestein_single_fwd_len306_dim1_dp_op_CI_CI
	.globl	bluestein_single_fwd_len306_dim1_dp_op_CI_CI
	.p2align	8
	.type	bluestein_single_fwd_len306_dim1_dp_op_CI_CI,@function
bluestein_single_fwd_len306_dim1_dp_op_CI_CI: ; @bluestein_single_fwd_len306_dim1_dp_op_CI_CI
; %bb.0:
	s_mov_b64 s[66:67], s[2:3]
	v_mul_u32_u24_e32 v1, 0x788, v0
	s_mov_b64 s[64:65], s[0:1]
	s_load_dwordx4 s[0:3], s[4:5], 0x28
	v_lshrrev_b32_e32 v1, 16, v1
	s_add_u32 s64, s64, s7
	v_mad_u64_u32 v[156:157], s[6:7], s6, 7, v[1:2]
	v_mov_b32_e32 v157, 0
	s_addc_u32 s65, s65, 0
	s_waitcnt lgkmcnt(0)
	v_cmp_gt_u64_e32 vcc, s[0:1], v[156:157]
	s_and_saveexec_b64 s[0:1], vcc
	s_cbranch_execz .LBB0_23
; %bb.1:
	s_mov_b32 s0, 0x24924925
	v_mul_hi_u32 v2, v156, s0
	s_load_dwordx2 s[12:13], s[4:5], 0x0
	s_load_dwordx2 s[14:15], s[4:5], 0x38
	v_mul_lo_u16_e32 v1, 34, v1
	v_sub_u16_e32 v255, v0, v1
	v_sub_u32_e32 v3, v156, v2
	v_lshrrev_b32_e32 v3, 1, v3
	v_add_u32_e32 v2, v3, v2
	v_lshrrev_b32_e32 v2, 2, v2
	v_mul_lo_u32 v2, v2, 7
	v_cmp_gt_u16_e32 vcc, 18, v255
	v_lshlrev_b32_e32 v235, 4, v255
	v_sub_u32_e32 v0, v156, v2
	v_mul_u32_u24_e32 v236, 0x132, v0
	v_lshlrev_b32_e32 v0, 4, v236
	buffer_store_dword v0, off, s[64:67], 0 offset:16 ; 4-byte Folded Spill
	s_and_saveexec_b64 s[6:7], vcc
	s_cbranch_execz .LBB0_3
; %bb.2:
	s_load_dwordx2 s[0:1], s[4:5], 0x18
	s_waitcnt lgkmcnt(0)
	v_mov_b32_e32 v44, s13
	v_or_b32_e32 v132, 0x120, v255
	s_load_dwordx4 s[8:11], s[0:1], 0x0
	s_waitcnt lgkmcnt(0)
	v_mad_u64_u32 v[0:1], s[0:1], s10, v156, 0
	v_mad_u64_u32 v[2:3], s[0:1], s8, v255, 0
	;; [unrolled: 1-line block ×4, first 2 shown]
	v_mov_b32_e32 v1, v4
	v_lshlrev_b64 v[0:1], 4, v[0:1]
	v_mov_b32_e32 v3, v5
	v_mov_b32_e32 v6, s3
	v_lshlrev_b64 v[2:3], 4, v[2:3]
	v_add_co_u32_e64 v18, s[0:1], s2, v0
	v_addc_co_u32_e64 v19, s[0:1], v6, v1, s[0:1]
	v_add_co_u32_e64 v16, s[0:1], v18, v2
	v_addc_co_u32_e64 v17, s[0:1], v19, v3, s[0:1]
	;; [unrolled: 2-line block ×3, first 2 shown]
	global_load_dwordx4 v[0:3], v235, s[12:13]
	global_load_dwordx4 v[4:7], v[16:17], off
	s_mul_i32 s0, s9, 0x120
	s_mul_hi_u32 s1, s8, 0x120
	s_mul_i32 s2, s8, 0x120
	s_add_i32 s3, s1, s0
	v_mov_b32_e32 v48, s3
	v_add_co_u32_e64 v16, s[0:1], s2, v16
	v_addc_co_u32_e64 v17, s[0:1], v17, v48, s[0:1]
	v_mov_b32_e32 v53, s3
	v_add_co_u32_e64 v52, s[0:1], s2, v16
	v_addc_co_u32_e64 v53, s[0:1], v17, v53, s[0:1]
	global_load_dwordx4 v[8:11], v235, s[12:13] offset:288
	global_load_dwordx4 v[12:15], v235, s[12:13] offset:576
	;; [unrolled: 1-line block ×8, first 2 shown]
	v_mov_b32_e32 v54, s3
	global_load_dwordx4 v[48:51], v[16:17], off
	v_add_co_u32_e64 v16, s[0:1], s2, v52
	v_addc_co_u32_e64 v17, s[0:1], v53, v54, s[0:1]
	v_mov_b32_e32 v60, s3
	v_add_co_u32_e64 v63, s[0:1], s2, v16
	v_addc_co_u32_e64 v64, s[0:1], v17, v60, s[0:1]
	v_mov_b32_e32 v65, s3
	global_load_dwordx4 v[52:55], v[52:53], off
	v_mov_b32_e32 v68, s3
	global_load_dwordx4 v[56:59], v[16:17], off
	v_add_co_u32_e64 v16, s[0:1], s2, v63
	v_addc_co_u32_e64 v17, s[0:1], v64, v65, s[0:1]
	v_add_co_u32_e64 v71, s[0:1], s2, v16
	v_addc_co_u32_e64 v72, s[0:1], v17, v68, s[0:1]
	v_mov_b32_e32 v73, s3
	global_load_dwordx4 v[60:63], v[63:64], off
	v_mov_b32_e32 v76, s3
	global_load_dwordx4 v[64:67], v[16:17], off
	v_add_co_u32_e64 v16, s[0:1], s2, v71
	v_addc_co_u32_e64 v17, s[0:1], v72, v73, s[0:1]
	;; [unrolled: 8-line block ×3, first 2 shown]
	v_add_co_u32_e64 v96, s[0:1], s2, v16
	v_addc_co_u32_e64 v97, s[0:1], v17, v84, s[0:1]
	global_load_dwordx4 v[76:79], v[79:80], off
	v_lshlrev_b32_e32 v44, 4, v132
	global_load_dwordx4 v[80:83], v[16:17], off
	v_mov_b32_e32 v17, s3
	v_add_co_u32_e64 v16, s[0:1], s2, v96
	v_addc_co_u32_e64 v17, s[0:1], v97, v17, s[0:1]
	global_load_dwordx4 v[44:47], v44, s[12:13]
	s_nop 0
	global_load_dwordx4 v[84:87], v[96:97], off
	global_load_dwordx4 v[88:91], v235, s[12:13] offset:2592
	global_load_dwordx4 v[92:95], v235, s[12:13] offset:2880
	v_mov_b32_e32 v100, s3
	global_load_dwordx4 v[96:99], v[16:17], off
	v_add_co_u32_e64 v16, s[0:1], s2, v16
	v_addc_co_u32_e64 v17, s[0:1], v17, v100, s[0:1]
	global_load_dwordx4 v[100:103], v[16:17], off
	global_load_dwordx4 v[104:107], v235, s[12:13] offset:3168
	global_load_dwordx4 v[108:111], v235, s[12:13] offset:3456
	v_mov_b32_e32 v112, s3
	v_add_co_u32_e64 v16, s[0:1], s2, v16
	v_addc_co_u32_e64 v17, s[0:1], v17, v112, s[0:1]
	global_load_dwordx4 v[112:115], v[16:17], off
	v_mov_b32_e32 v116, s3
	v_add_co_u32_e64 v16, s[0:1], s2, v16
	v_addc_co_u32_e64 v17, s[0:1], v17, v116, s[0:1]
	v_mad_u64_u32 v[138:139], s[0:1], s8, v132, 0
	global_load_dwordx4 v[116:119], v[16:17], off
	global_load_dwordx4 v[120:123], v235, s[12:13] offset:3744
	global_load_dwordx4 v[124:127], v235, s[12:13] offset:4032
	v_mov_b32_e32 v128, s3
	v_add_co_u32_e64 v16, s[0:1], s2, v16
	v_addc_co_u32_e64 v17, s[0:1], v17, v128, s[0:1]
	global_load_dwordx4 v[128:131], v[16:17], off
	v_mov_b32_e32 v16, v139
	v_mad_u64_u32 v[16:17], s[0:1], s9, v132, v[16:17]
	s_movk_i32 s2, 0x1000
	v_add_co_u32_e64 v132, s[0:1], s2, v133
	v_mov_b32_e32 v139, v16
	v_lshlrev_b64 v[16:17], 4, v[138:139]
	v_addc_co_u32_e64 v133, s[0:1], 0, v134, s[0:1]
	v_add_co_u32_e64 v16, s[0:1], v18, v16
	global_load_dwordx4 v[132:135], v[132:133], off offset:224
	v_addc_co_u32_e64 v17, s[0:1], v19, v17, s[0:1]
	global_load_dwordx4 v[16:19], v[16:17], off
	s_waitcnt vmcnt(32)
	v_mul_f64 v[136:137], v[6:7], v[2:3]
	v_mul_f64 v[138:139], v[4:5], v[2:3]
	v_fma_f64 v[2:3], v[4:5], v[0:1], v[136:137]
	v_fma_f64 v[4:5], v[6:7], v[0:1], -v[138:139]
	v_lshlrev_b32_e32 v136, 4, v236
	v_lshl_add_u32 v6, v255, 4, v136
	s_waitcnt vmcnt(23)
	v_mul_f64 v[0:1], v[50:51], v[10:11]
	ds_write_b128 v6, v[2:5]
	v_mul_f64 v[2:3], v[48:49], v[10:11]
	s_waitcnt vmcnt(22)
	v_mul_f64 v[4:5], v[54:55], v[14:15]
	v_mul_f64 v[6:7], v[52:53], v[14:15]
	s_waitcnt vmcnt(21)
	v_mul_f64 v[10:11], v[58:59], v[22:23]
	v_mul_f64 v[14:15], v[56:57], v[22:23]
	s_waitcnt vmcnt(20)
	v_mul_f64 v[22:23], v[62:63], v[26:27]
	v_mul_f64 v[26:27], v[60:61], v[26:27]
	v_fma_f64 v[0:1], v[48:49], v[8:9], v[0:1]
	v_fma_f64 v[2:3], v[50:51], v[8:9], -v[2:3]
	v_fma_f64 v[4:5], v[52:53], v[12:13], v[4:5]
	v_fma_f64 v[6:7], v[54:55], v[12:13], -v[6:7]
	;; [unrolled: 2-line block ×3, first 2 shown]
	v_fma_f64 v[12:13], v[60:61], v[24:25], v[22:23]
	s_waitcnt vmcnt(19)
	v_mul_f64 v[20:21], v[66:67], v[30:31]
	v_mul_f64 v[22:23], v[64:65], v[30:31]
	v_fma_f64 v[14:15], v[62:63], v[24:25], -v[26:27]
	s_waitcnt vmcnt(18)
	v_mul_f64 v[24:25], v[70:71], v[34:35]
	v_mul_f64 v[26:27], v[68:69], v[34:35]
	s_waitcnt vmcnt(17)
	v_mul_f64 v[30:31], v[74:75], v[38:39]
	v_mul_f64 v[34:35], v[72:73], v[38:39]
	;; [unrolled: 3-line block ×3, first 2 shown]
	v_fma_f64 v[20:21], v[64:65], v[28:29], v[20:21]
	v_fma_f64 v[22:23], v[66:67], v[28:29], -v[22:23]
	v_fma_f64 v[24:25], v[68:69], v[32:33], v[24:25]
	v_fma_f64 v[26:27], v[70:71], v[32:33], -v[26:27]
	;; [unrolled: 2-line block ×3, first 2 shown]
	v_add_u32_e32 v48, v136, v235
	v_fma_f64 v[32:33], v[76:77], v[40:41], v[38:39]
	v_fma_f64 v[34:35], v[78:79], v[40:41], -v[42:43]
	ds_write_b128 v48, v[0:3] offset:288
	ds_write_b128 v48, v[4:7] offset:576
	;; [unrolled: 1-line block ×8, first 2 shown]
	s_waitcnt vmcnt(12)
	v_mul_f64 v[0:1], v[82:83], v[90:91]
	v_mul_f64 v[2:3], v[80:81], v[90:91]
	s_waitcnt vmcnt(11)
	v_mul_f64 v[4:5], v[86:87], v[94:95]
	v_mul_f64 v[6:7], v[84:85], v[94:95]
	;; [unrolled: 3-line block ×6, first 2 shown]
	v_fma_f64 v[0:1], v[80:81], v[88:89], v[0:1]
	v_fma_f64 v[2:3], v[82:83], v[88:89], -v[2:3]
	v_fma_f64 v[4:5], v[84:85], v[92:93], v[4:5]
	v_fma_f64 v[6:7], v[86:87], v[92:93], -v[6:7]
	;; [unrolled: 2-line block ×6, first 2 shown]
	s_waitcnt vmcnt(1)
	v_mul_f64 v[28:29], v[130:131], v[134:135]
	v_mul_f64 v[30:31], v[128:129], v[134:135]
	s_waitcnt vmcnt(0)
	v_mul_f64 v[32:33], v[18:19], v[46:47]
	v_mul_f64 v[34:35], v[16:17], v[46:47]
	v_fma_f64 v[28:29], v[128:129], v[132:133], v[28:29]
	v_fma_f64 v[30:31], v[130:131], v[132:133], -v[30:31]
	v_fma_f64 v[16:17], v[16:17], v[44:45], v[32:33]
	v_fma_f64 v[18:19], v[18:19], v[44:45], -v[34:35]
	ds_write_b128 v48, v[0:3] offset:2592
	ds_write_b128 v48, v[4:7] offset:2880
	;; [unrolled: 1-line block ×8, first 2 shown]
.LBB0_3:
	s_or_b64 exec, exec, s[6:7]
	s_waitcnt vmcnt(0) lgkmcnt(0)
	s_barrier
	s_waitcnt lgkmcnt(0)
                                        ; implicit-def: $vgpr28_vgpr29
                                        ; implicit-def: $vgpr76_vgpr77
                                        ; implicit-def: $vgpr80_vgpr81
                                        ; implicit-def: $vgpr84_vgpr85
                                        ; implicit-def: $vgpr88_vgpr89
                                        ; implicit-def: $vgpr92_vgpr93
                                        ; implicit-def: $vgpr40_vgpr41
                                        ; implicit-def: $vgpr32_vgpr33
                                        ; implicit-def: $vgpr36_vgpr37
                                        ; implicit-def: $vgpr44_vgpr45
                                        ; implicit-def: $vgpr48_vgpr49
                                        ; implicit-def: $vgpr52_vgpr53
                                        ; implicit-def: $vgpr56_vgpr57
                                        ; implicit-def: $vgpr60_vgpr61
                                        ; implicit-def: $vgpr64_vgpr65
                                        ; implicit-def: $vgpr68_vgpr69
                                        ; implicit-def: $vgpr72_vgpr73
	s_and_saveexec_b64 s[0:1], vcc
	s_cbranch_execz .LBB0_5
; %bb.4:
	v_lshl_add_u32 v0, v236, 4, v235
	ds_read_b128 v[28:31], v0
	ds_read_b128 v[76:79], v0 offset:288
	ds_read_b128 v[80:83], v0 offset:576
	;; [unrolled: 1-line block ×16, first 2 shown]
.LBB0_5:
	s_or_b64 exec, exec, s[0:1]
	s_waitcnt lgkmcnt(0)
	v_add_f64 v[2:3], v[78:79], -v[74:75]
	s_mov_b32 s34, 0x5d8e7cdc
	s_mov_b32 s35, 0xbfd71e95
	v_add_f64 v[0:1], v[76:77], -v[72:73]
	v_add_f64 v[106:107], v[82:83], -v[70:71]
	s_mov_b32 s40, 0x2a9d6da3
	s_mov_b32 s44, 0x7c9e640b
	;; [unrolled: 1-line block ×3, first 2 shown]
	v_mul_f64 v[4:5], v[2:3], s[34:35]
	s_mov_b32 s24, 0x923c349f
	s_mov_b32 s26, 0x6c9a05f6
	;; [unrolled: 1-line block ×9, first 2 shown]
	s_load_dwordx2 s[6:7], s[4:5], 0x20
	s_load_dwordx2 s[8:9], s[4:5], 0x8
	v_mul_f64 v[6:7], v[0:1], s[34:35]
	buffer_store_dword v4, off, s[64:67], 0 offset:20 ; 4-byte Folded Spill
	s_nop 0
	buffer_store_dword v5, off, s[64:67], 0 offset:24 ; 4-byte Folded Spill
	v_mul_f64 v[8:9], v[2:3], s[40:41]
	v_mul_f64 v[10:11], v[0:1], s[40:41]
	;; [unrolled: 1-line block ×12, first 2 shown]
	v_add_f64 v[104:105], v[80:81], -v[68:69]
	v_mul_f64 v[108:109], v[106:107], s[40:41]
	buffer_store_dword v6, off, s[64:67], 0 offset:28 ; 4-byte Folded Spill
	s_nop 0
	buffer_store_dword v7, off, s[64:67], 0 offset:32 ; 4-byte Folded Spill
	buffer_store_dword v8, off, s[64:67], 0 offset:44 ; 4-byte Folded Spill
	s_nop 0
	buffer_store_dword v9, off, s[64:67], 0 offset:48 ; 4-byte Folded Spill
	;; [unrolled: 3-line block ×13, first 2 shown]
	v_mul_f64 v[114:115], v[104:105], s[40:41]
	buffer_store_dword v108, off, s[64:67], 0 offset:68 ; 4-byte Folded Spill
	s_nop 0
	buffer_store_dword v109, off, s[64:67], 0 offset:72 ; 4-byte Folded Spill
	buffer_store_dword v114, off, s[64:67], 0 offset:100 ; 4-byte Folded Spill
	s_nop 0
	buffer_store_dword v115, off, s[64:67], 0 offset:104 ; 4-byte Folded Spill
	v_add_f64 v[110:111], v[76:77], v[72:73]
	s_mov_b32 s0, 0x370991
	s_mov_b32 s1, 0x3fedd6d0
	v_add_f64 v[112:113], v[78:79], v[74:75]
	v_add_f64 v[128:129], v[80:81], v[68:69]
	s_mov_b32 s10, 0x75d4884
	s_mov_b32 s11, 0x3fe7a5f6
	v_add_f64 v[130:131], v[82:83], v[70:71]
	s_mov_b32 s4, 0x3259b75e
	s_mov_b32 s5, 0x3fb79ee6
	;; [unrolled: 1-line block ×20, first 2 shown]
	v_mul_f64 v[2:3], v[2:3], s[36:37]
	s_mov_b32 s43, 0x3fd71e95
	s_mov_b32 s42, s34
	v_mul_f64 v[0:1], v[0:1], s[36:37]
	v_add_f64 v[159:160], v[84:85], v[64:65]
	v_add_f64 v[161:162], v[86:87], v[66:67]
	s_mov_b32 s47, 0x3fc7851a
	s_mov_b32 s46, s36
	v_fma_f64 v[100:101], v[110:111], s[20:21], -v[2:3]
	v_fma_f64 v[2:3], v[110:111], s[20:21], v[2:3]
	v_add_f64 v[181:182], v[88:89], v[60:61]
	v_fma_f64 v[102:103], v[112:113], s[20:21], v[0:1]
	v_fma_f64 v[0:1], v[112:113], s[20:21], -v[0:1]
	v_add_f64 v[183:184], v[90:91], v[62:63]
	v_fma_f64 v[4:5], v[110:111], s[0:1], v[4:5]
	s_mov_b32 s51, 0x3fe9895b
	v_add_f64 v[100:101], v[28:29], v[100:101]
	v_add_f64 v[2:3], v[28:29], v[2:3]
	s_mov_b32 s50, s26
	v_add_f64 v[102:103], v[30:31], v[102:103]
	v_add_f64 v[0:1], v[30:31], v[0:1]
	v_add_f64 v[118:119], v[94:95], -v[58:59]
	v_add_f64 v[4:5], v[28:29], v[4:5]
	v_add_f64 v[213:214], v[92:93], v[56:57]
	v_add_f64 v[215:216], v[94:95], v[58:59]
	v_add_f64 v[126:127], v[42:43], -v[54:55]
	v_add_f64 v[239:240], v[40:41], v[52:53]
	v_add_f64 v[243:244], v[42:43], v[54:55]
	v_add_f64 v[163:164], v[34:35], -v[50:51]
	v_fma_f64 v[6:7], v[112:113], s[0:1], -v[6:7]
	v_fma_f64 v[8:9], v[110:111], s[10:11], v[8:9]
	v_fma_f64 v[10:11], v[112:113], s[10:11], -v[10:11]
	v_fma_f64 v[12:13], v[110:111], s[2:3], v[12:13]
	;; [unrolled: 2-line block ×4, first 2 shown]
	v_add_f64 v[6:7], v[30:31], v[6:7]
	v_add_f64 v[8:9], v[28:29], v[8:9]
	;; [unrolled: 1-line block ×6, first 2 shown]
	v_fma_f64 v[108:109], v[128:129], s[10:11], v[108:109]
	v_add_f64 v[18:19], v[30:31], v[18:19]
	v_add_f64 v[20:21], v[28:29], v[20:21]
	v_fma_f64 v[22:23], v[112:113], s[18:19], -v[22:23]
	v_fma_f64 v[24:25], v[110:111], s[22:23], v[24:25]
	v_fma_f64 v[26:27], v[112:113], s[22:23], -v[26:27]
	v_fma_f64 v[96:97], v[110:111], s[16:17], v[96:97]
	v_fma_f64 v[98:99], v[112:113], s[16:17], -v[98:99]
	v_add_f64 v[4:5], v[108:109], v[4:5]
	v_fma_f64 v[108:109], v[130:131], s[10:11], -v[114:115]
	v_mul_f64 v[114:115], v[104:105], s[38:39]
	v_add_f64 v[22:23], v[30:31], v[22:23]
	v_add_f64 v[24:25], v[28:29], v[24:25]
	;; [unrolled: 1-line block ×5, first 2 shown]
	v_mul_f64 v[148:149], v[118:119], s[34:35]
	v_add_f64 v[6:7], v[108:109], v[6:7]
	v_mul_f64 v[108:109], v[106:107], s[38:39]
	buffer_store_dword v108, off, s[64:67], 0 offset:116 ; 4-byte Folded Spill
	s_nop 0
	buffer_store_dword v109, off, s[64:67], 0 offset:120 ; 4-byte Folded Spill
	buffer_store_dword v114, off, s[64:67], 0 offset:172 ; 4-byte Folded Spill
	s_nop 0
	buffer_store_dword v115, off, s[64:67], 0 offset:176 ; 4-byte Folded Spill
	v_mul_f64 v[241:242], v[126:127], s[48:49]
	v_mul_f64 v[152:153], v[126:127], s[30:31]
	;; [unrolled: 1-line block ×4, first 2 shown]
	v_add_f64 v[157:158], v[32:33], -v[48:49]
	v_add_f64 v[134:135], v[34:35], v[50:51]
	v_mul_f64 v[185:186], v[163:164], s[50:51]
	v_mul_f64 v[199:200], v[163:164], s[34:35]
	;; [unrolled: 1-line block ×3, first 2 shown]
	v_add_f64 v[233:234], v[38:39], -v[46:47]
	v_add_f64 v[227:228], v[36:37], -v[44:45]
	v_mul_f64 v[144:145], v[157:158], s[28:29]
	v_mul_f64 v[177:178], v[157:158], s[38:39]
	;; [unrolled: 1-line block ×14, first 2 shown]
	v_fma_f64 v[108:109], v[128:129], s[4:5], v[108:109]
	v_add_f64 v[8:9], v[108:109], v[8:9]
	v_fma_f64 v[108:109], v[130:131], s[4:5], -v[114:115]
	v_mul_f64 v[114:115], v[104:105], s[26:27]
	v_add_f64 v[10:11], v[108:109], v[10:11]
	v_mul_f64 v[108:109], v[106:107], s[26:27]
	buffer_store_dword v108, off, s[64:67], 0 offset:188 ; 4-byte Folded Spill
	s_nop 0
	buffer_store_dword v109, off, s[64:67], 0 offset:192 ; 4-byte Folded Spill
	buffer_store_dword v114, off, s[64:67], 0 offset:236 ; 4-byte Folded Spill
	s_nop 0
	buffer_store_dword v115, off, s[64:67], 0 offset:240 ; 4-byte Folded Spill
	v_fma_f64 v[108:109], v[128:129], s[22:23], v[108:109]
	v_add_f64 v[12:13], v[108:109], v[12:13]
	v_fma_f64 v[108:109], v[130:131], s[22:23], -v[114:115]
	v_mul_f64 v[114:115], v[104:105], s[36:37]
	v_add_f64 v[14:15], v[108:109], v[14:15]
	v_mul_f64 v[108:109], v[106:107], s[36:37]
	buffer_store_dword v108, off, s[64:67], 0 offset:260 ; 4-byte Folded Spill
	s_nop 0
	buffer_store_dword v109, off, s[64:67], 0 offset:264 ; 4-byte Folded Spill
	buffer_store_dword v114, off, s[64:67], 0 offset:268 ; 4-byte Folded Spill
	s_nop 0
	buffer_store_dword v115, off, s[64:67], 0 offset:272 ; 4-byte Folded Spill
	;; [unrolled: 12-line block ×4, first 2 shown]
	v_fma_f64 v[108:109], v[128:129], s[18:19], v[108:109]
	v_add_f64 v[24:25], v[108:109], v[24:25]
	v_fma_f64 v[108:109], v[130:131], s[18:19], -v[114:115]
	v_mul_f64 v[114:115], v[104:105], s[28:29]
	v_mul_f64 v[104:105], v[104:105], s[42:43]
	v_add_f64 v[26:27], v[108:109], v[26:27]
	v_mul_f64 v[108:109], v[106:107], s[28:29]
	buffer_store_dword v108, off, s[64:67], 0 offset:364 ; 4-byte Folded Spill
	s_nop 0
	buffer_store_dword v109, off, s[64:67], 0 offset:368 ; 4-byte Folded Spill
	buffer_store_dword v114, off, s[64:67], 0 offset:372 ; 4-byte Folded Spill
	s_nop 0
	buffer_store_dword v115, off, s[64:67], 0 offset:376 ; 4-byte Folded Spill
	v_mul_f64 v[106:107], v[106:107], s[42:43]
	v_fma_f64 v[108:109], v[128:129], s[2:3], v[108:109]
	v_add_f64 v[96:97], v[108:109], v[96:97]
	v_fma_f64 v[108:109], v[130:131], s[2:3], -v[114:115]
	v_add_f64 v[98:99], v[108:109], v[98:99]
	v_fma_f64 v[108:109], v[128:129], s[0:1], -v[106:107]
	v_fma_f64 v[106:107], v[128:129], s[0:1], v[106:107]
	v_add_f64 v[100:101], v[108:109], v[100:101]
	v_fma_f64 v[108:109], v[130:131], s[0:1], v[104:105]
	v_add_f64 v[2:3], v[106:107], v[2:3]
	v_fma_f64 v[104:105], v[130:131], s[0:1], -v[104:105]
	v_add_f64 v[106:107], v[86:87], -v[66:67]
	v_add_f64 v[102:103], v[108:109], v[102:103]
	v_add_f64 v[0:1], v[104:105], v[0:1]
	v_add_f64 v[104:105], v[84:85], -v[64:65]
	v_mul_f64 v[108:109], v[106:107], s[44:45]
	buffer_store_dword v108, off, s[64:67], 0 offset:204 ; 4-byte Folded Spill
	s_nop 0
	buffer_store_dword v109, off, s[64:67], 0 offset:208 ; 4-byte Folded Spill
	v_mul_f64 v[114:115], v[104:105], s[44:45]
	buffer_store_dword v114, off, s[64:67], 0 offset:212 ; 4-byte Folded Spill
	s_nop 0
	buffer_store_dword v115, off, s[64:67], 0 offset:216 ; 4-byte Folded Spill
	v_fma_f64 v[108:109], v[159:160], s[2:3], v[108:109]
	v_add_f64 v[4:5], v[108:109], v[4:5]
	v_fma_f64 v[108:109], v[161:162], s[2:3], -v[114:115]
	v_mul_f64 v[114:115], v[104:105], s[26:27]
	v_add_f64 v[6:7], v[108:109], v[6:7]
	v_mul_f64 v[108:109], v[106:107], s[26:27]
	buffer_store_dword v108, off, s[64:67], 0 offset:220 ; 4-byte Folded Spill
	s_nop 0
	buffer_store_dword v109, off, s[64:67], 0 offset:224 ; 4-byte Folded Spill
	buffer_store_dword v114, off, s[64:67], 0 offset:276 ; 4-byte Folded Spill
	s_nop 0
	buffer_store_dword v115, off, s[64:67], 0 offset:280 ; 4-byte Folded Spill
	v_fma_f64 v[108:109], v[159:160], s[22:23], v[108:109]
	v_add_f64 v[8:9], v[108:109], v[8:9]
	v_fma_f64 v[108:109], v[161:162], s[22:23], -v[114:115]
	v_mul_f64 v[114:115], v[104:105], s[46:47]
	v_add_f64 v[10:11], v[108:109], v[10:11]
	v_mul_f64 v[108:109], v[106:107], s[46:47]
	buffer_store_dword v108, off, s[64:67], 0 offset:292 ; 4-byte Folded Spill
	s_nop 0
	buffer_store_dword v109, off, s[64:67], 0 offset:296 ; 4-byte Folded Spill
	buffer_store_dword v114, off, s[64:67], 0 offset:348 ; 4-byte Folded Spill
	s_nop 0
	buffer_store_dword v115, off, s[64:67], 0 offset:352 ; 4-byte Folded Spill
	s_mov_b32 s47, 0x3fe58eea
	s_mov_b32 s46, s40
	v_mul_f64 v[207:208], v[163:164], s[46:47]
	v_mul_f64 v[209:210], v[157:158], s[46:47]
	;; [unrolled: 1-line block ×4, first 2 shown]
	v_fma_f64 v[108:109], v[159:160], s[20:21], v[108:109]
	v_add_f64 v[12:13], v[108:109], v[12:13]
	v_fma_f64 v[108:109], v[161:162], s[20:21], -v[114:115]
	v_mul_f64 v[114:115], v[104:105], s[48:49]
	v_add_f64 v[14:15], v[108:109], v[14:15]
	v_mul_f64 v[108:109], v[106:107], s[48:49]
	buffer_store_dword v108, off, s[64:67], 0 offset:356 ; 4-byte Folded Spill
	s_nop 0
	buffer_store_dword v109, off, s[64:67], 0 offset:360 ; 4-byte Folded Spill
	buffer_store_dword v114, off, s[64:67], 0 offset:380 ; 4-byte Folded Spill
	s_nop 0
	buffer_store_dword v115, off, s[64:67], 0 offset:384 ; 4-byte Folded Spill
	v_fma_f64 v[108:109], v[159:160], s[18:19], v[108:109]
	v_add_f64 v[16:17], v[108:109], v[16:17]
	v_fma_f64 v[108:109], v[161:162], s[18:19], -v[114:115]
	v_mul_f64 v[114:115], v[104:105], s[46:47]
	v_add_f64 v[18:19], v[108:109], v[18:19]
	v_mul_f64 v[108:109], v[106:107], s[46:47]
	buffer_store_dword v108, off, s[64:67], 0 offset:396 ; 4-byte Folded Spill
	s_nop 0
	buffer_store_dword v109, off, s[64:67], 0 offset:400 ; 4-byte Folded Spill
	buffer_store_dword v114, off, s[64:67], 0 offset:404 ; 4-byte Folded Spill
	s_nop 0
	buffer_store_dword v115, off, s[64:67], 0 offset:408 ; 4-byte Folded Spill
	;; [unrolled: 12-line block ×3, first 2 shown]
	v_fma_f64 v[108:109], v[159:160], s[0:1], v[108:109]
	v_add_f64 v[24:25], v[108:109], v[24:25]
	v_fma_f64 v[108:109], v[161:162], s[0:1], -v[114:115]
	v_mul_f64 v[114:115], v[104:105], s[38:39]
	v_mul_f64 v[104:105], v[104:105], s[30:31]
	v_add_f64 v[26:27], v[108:109], v[26:27]
	v_mul_f64 v[108:109], v[106:107], s[38:39]
	buffer_store_dword v108, off, s[64:67], 0 offset:468 ; 4-byte Folded Spill
	s_nop 0
	buffer_store_dword v109, off, s[64:67], 0 offset:472 ; 4-byte Folded Spill
	buffer_store_dword v114, off, s[64:67], 0 offset:476 ; 4-byte Folded Spill
	s_nop 0
	buffer_store_dword v115, off, s[64:67], 0 offset:480 ; 4-byte Folded Spill
	v_mul_f64 v[106:107], v[106:107], s[30:31]
	v_fma_f64 v[108:109], v[159:160], s[4:5], v[108:109]
	v_add_f64 v[96:97], v[108:109], v[96:97]
	v_fma_f64 v[108:109], v[161:162], s[4:5], -v[114:115]
	v_add_f64 v[98:99], v[108:109], v[98:99]
	v_fma_f64 v[108:109], v[159:160], s[16:17], -v[106:107]
	v_fma_f64 v[106:107], v[159:160], s[16:17], v[106:107]
	v_add_f64 v[100:101], v[108:109], v[100:101]
	v_fma_f64 v[108:109], v[161:162], s[16:17], v[104:105]
	v_fma_f64 v[104:105], v[161:162], s[16:17], -v[104:105]
	v_add_f64 v[2:3], v[106:107], v[2:3]
	v_add_f64 v[106:107], v[88:89], -v[60:61]
	v_add_f64 v[102:103], v[108:109], v[102:103]
	v_add_f64 v[108:109], v[90:91], -v[62:63]
	v_add_f64 v[0:1], v[104:105], v[0:1]
	v_mul_f64 v[114:115], v[106:107], s[38:39]
	v_mul_f64 v[104:105], v[108:109], s[38:39]
	buffer_store_dword v104, off, s[64:67], 0 offset:308 ; 4-byte Folded Spill
	s_nop 0
	buffer_store_dword v105, off, s[64:67], 0 offset:312 ; 4-byte Folded Spill
	buffer_store_dword v114, off, s[64:67], 0 offset:316 ; 4-byte Folded Spill
	s_nop 0
	buffer_store_dword v115, off, s[64:67], 0 offset:320 ; 4-byte Folded Spill
	v_fma_f64 v[104:105], v[181:182], s[4:5], v[104:105]
	v_add_f64 v[4:5], v[104:105], v[4:5]
	v_fma_f64 v[104:105], v[183:184], s[4:5], -v[114:115]
	v_mul_f64 v[114:115], v[106:107], s[36:37]
	v_add_f64 v[6:7], v[104:105], v[6:7]
	v_mul_f64 v[104:105], v[108:109], s[36:37]
	buffer_store_dword v104, off, s[64:67], 0 offset:324 ; 4-byte Folded Spill
	s_nop 0
	buffer_store_dword v105, off, s[64:67], 0 offset:328 ; 4-byte Folded Spill
	buffer_store_dword v114, off, s[64:67], 0 offset:388 ; 4-byte Folded Spill
	s_nop 0
	buffer_store_dword v115, off, s[64:67], 0 offset:392 ; 4-byte Folded Spill
	v_fma_f64 v[104:105], v[181:182], s[20:21], v[104:105]
	v_add_f64 v[8:9], v[104:105], v[8:9]
	v_fma_f64 v[104:105], v[183:184], s[20:21], -v[114:115]
	v_mul_f64 v[114:115], v[106:107], s[48:49]
	v_add_f64 v[10:11], v[104:105], v[10:11]
	;; [unrolled: 12-line block ×5, first 2 shown]
	v_mul_f64 v[104:105], v[108:109], s[30:31]
	buffer_store_dword v104, off, s[64:67], 0 offset:540 ; 4-byte Folded Spill
	s_nop 0
	buffer_store_dword v105, off, s[64:67], 0 offset:544 ; 4-byte Folded Spill
	buffer_store_dword v114, off, s[64:67], 0 offset:556 ; 4-byte Folded Spill
	s_nop 0
	buffer_store_dword v115, off, s[64:67], 0 offset:560 ; 4-byte Folded Spill
	v_fma_f64 v[104:105], v[181:182], s[16:17], v[104:105]
	v_add_f64 v[24:25], v[104:105], v[24:25]
	v_fma_f64 v[104:105], v[183:184], s[16:17], -v[114:115]
	v_mul_f64 v[114:115], v[106:107], s[50:51]
	v_mul_f64 v[106:107], v[106:107], s[46:47]
	v_add_f64 v[26:27], v[104:105], v[26:27]
	v_mul_f64 v[104:105], v[108:109], s[50:51]
	v_mul_f64 v[108:109], v[108:109], s[46:47]
	v_fma_f64 v[116:117], v[181:182], s[22:23], v[104:105]
	v_add_f64 v[96:97], v[116:117], v[96:97]
	v_fma_f64 v[116:117], v[183:184], s[22:23], -v[114:115]
	v_add_f64 v[98:99], v[116:117], v[98:99]
	v_fma_f64 v[116:117], v[181:182], s[10:11], -v[108:109]
	v_fma_f64 v[108:109], v[181:182], s[10:11], v[108:109]
	v_add_f64 v[100:101], v[116:117], v[100:101]
	v_fma_f64 v[116:117], v[183:184], s[10:11], v[106:107]
	v_fma_f64 v[106:107], v[183:184], s[10:11], -v[106:107]
	v_add_f64 v[2:3], v[108:109], v[2:3]
	v_add_f64 v[108:109], v[92:93], -v[56:57]
	v_add_f64 v[102:103], v[116:117], v[102:103]
	v_add_f64 v[0:1], v[106:107], v[0:1]
	v_mul_f64 v[106:107], v[118:119], s[24:25]
	v_mul_f64 v[116:117], v[108:109], s[24:25]
	buffer_store_dword v106, off, s[64:67], 0 offset:412 ; 4-byte Folded Spill
	s_nop 0
	buffer_store_dword v107, off, s[64:67], 0 offset:416 ; 4-byte Folded Spill
	buffer_store_dword v116, off, s[64:67], 0 offset:420 ; 4-byte Folded Spill
	s_nop 0
	buffer_store_dword v117, off, s[64:67], 0 offset:424 ; 4-byte Folded Spill
	v_mul_f64 v[253:254], v[108:109], s[46:47]
	v_mul_f64 v[122:123], v[108:109], s[36:37]
	;; [unrolled: 1-line block ×3, first 2 shown]
	v_fma_f64 v[106:107], v[213:214], s[18:19], v[106:107]
	v_add_f64 v[4:5], v[106:107], v[4:5]
	v_fma_f64 v[106:107], v[215:216], s[18:19], -v[116:117]
	v_mul_f64 v[116:117], v[108:109], s[52:53]
	v_add_f64 v[6:7], v[106:107], v[6:7]
	v_mul_f64 v[106:107], v[118:119], s[52:53]
	buffer_store_dword v106, off, s[64:67], 0 offset:444 ; 4-byte Folded Spill
	s_nop 0
	buffer_store_dword v107, off, s[64:67], 0 offset:448 ; 4-byte Folded Spill
	buffer_store_dword v116, off, s[64:67], 0 offset:492 ; 4-byte Folded Spill
	s_nop 0
	buffer_store_dword v117, off, s[64:67], 0 offset:496 ; 4-byte Folded Spill
	v_fma_f64 v[106:107], v[213:214], s[16:17], v[106:107]
	v_add_f64 v[8:9], v[106:107], v[8:9]
	v_fma_f64 v[106:107], v[215:216], s[16:17], -v[116:117]
	v_mul_f64 v[116:117], v[108:109], s[44:45]
	v_add_f64 v[10:11], v[106:107], v[10:11]
	v_mul_f64 v[106:107], v[118:119], s[46:47]
	buffer_store_dword v106, off, s[64:67], 0 offset:548 ; 4-byte Folded Spill
	s_nop 0
	buffer_store_dword v107, off, s[64:67], 0 offset:552 ; 4-byte Folded Spill
	v_fma_f64 v[106:107], v[213:214], s[10:11], v[106:107]
	v_add_f64 v[12:13], v[106:107], v[12:13]
	v_fma_f64 v[106:107], v[215:216], s[10:11], -v[253:254]
	v_add_f64 v[14:15], v[106:107], v[14:15]
	v_mul_f64 v[106:107], v[118:119], s[44:45]
	s_mov_b32 s45, 0x3fefdd0d
	s_mov_b32 s44, s38
	v_mul_f64 v[138:139], v[118:119], s[44:45]
	v_mul_f64 v[140:141], v[108:109], s[44:45]
	;; [unrolled: 1-line block ×4, first 2 shown]
	v_fma_f64 v[120:121], v[213:214], s[2:3], v[106:107]
	v_add_f64 v[16:17], v[120:121], v[16:17]
	v_fma_f64 v[120:121], v[215:216], s[2:3], -v[116:117]
	v_add_f64 v[18:19], v[120:121], v[18:19]
	v_mul_f64 v[120:121], v[118:119], s[36:37]
	v_mul_f64 v[118:119], v[118:119], s[26:27]
	v_fma_f64 v[124:125], v[213:214], s[20:21], v[120:121]
	v_add_f64 v[20:21], v[124:125], v[20:21]
	v_fma_f64 v[124:125], v[215:216], s[20:21], -v[122:123]
	v_add_f64 v[22:23], v[124:125], v[22:23]
	v_fma_f64 v[124:125], v[213:214], s[4:5], v[138:139]
	v_add_f64 v[24:25], v[124:125], v[24:25]
	v_fma_f64 v[124:125], v[215:216], s[4:5], -v[140:141]
	v_add_f64 v[26:27], v[124:125], v[26:27]
	;; [unrolled: 4-line block ×3, first 2 shown]
	v_fma_f64 v[124:125], v[213:214], s[22:23], -v[118:119]
	v_fma_f64 v[118:119], v[213:214], s[22:23], v[118:119]
	v_add_f64 v[100:101], v[124:125], v[100:101]
	v_fma_f64 v[124:125], v[215:216], s[22:23], v[108:109]
	v_fma_f64 v[108:109], v[215:216], s[22:23], -v[108:109]
	v_add_f64 v[2:3], v[118:119], v[2:3]
	v_add_f64 v[102:103], v[124:125], v[102:103]
	;; [unrolled: 1-line block ×3, first 2 shown]
	v_add_f64 v[124:125], v[40:41], -v[52:53]
	v_mul_f64 v[108:109], v[126:127], s[26:27]
	buffer_store_dword v108, off, s[64:67], 0 offset:524 ; 4-byte Folded Spill
	s_nop 0
	buffer_store_dword v109, off, s[64:67], 0 offset:528 ; 4-byte Folded Spill
	v_mul_f64 v[118:119], v[124:125], s[26:27]
	buffer_store_dword v118, off, s[64:67], 0 offset:532 ; 4-byte Folded Spill
	s_nop 0
	buffer_store_dword v119, off, s[64:67], 0 offset:536 ; 4-byte Folded Spill
	v_mul_f64 v[142:143], v[124:125], s[34:35]
	v_mul_f64 v[154:155], v[124:125], s[30:31]
	;; [unrolled: 1-line block ×5, first 2 shown]
	v_fma_f64 v[108:109], v[239:240], s[22:23], v[108:109]
	v_add_f64 v[4:5], v[108:109], v[4:5]
	v_fma_f64 v[108:109], v[243:244], s[22:23], -v[118:119]
	v_mul_f64 v[118:119], v[124:125], s[48:49]
	v_mul_f64 v[124:125], v[124:125], s[28:29]
	v_add_f64 v[6:7], v[108:109], v[6:7]
	v_fma_f64 v[108:109], v[239:240], s[18:19], v[241:242]
	v_add_f64 v[8:9], v[108:109], v[8:9]
	v_fma_f64 v[108:109], v[243:244], s[18:19], -v[118:119]
	v_add_f64 v[10:11], v[108:109], v[10:11]
	v_mul_f64 v[108:109], v[126:127], s[34:35]
	v_mul_f64 v[126:127], v[126:127], s[28:29]
	v_fma_f64 v[132:133], v[239:240], s[0:1], v[108:109]
	v_add_f64 v[12:13], v[132:133], v[12:13]
	v_fma_f64 v[132:133], v[243:244], s[0:1], -v[142:143]
	v_add_f64 v[14:15], v[132:133], v[14:15]
	v_fma_f64 v[132:133], v[239:240], s[16:17], v[152:153]
	v_add_f64 v[16:17], v[132:133], v[16:17]
	v_fma_f64 v[132:133], v[243:244], s[16:17], -v[154:155]
	v_add_f64 v[18:19], v[132:133], v[18:19]
	v_fma_f64 v[132:133], v[239:240], s[4:5], v[165:166]
	v_add_f64 v[20:21], v[132:133], v[20:21]
	v_fma_f64 v[132:133], v[243:244], s[4:5], -v[171:172]
	v_add_f64 v[22:23], v[132:133], v[22:23]
	v_fma_f64 v[132:133], v[239:240], s[10:11], v[175:176]
	v_add_f64 v[24:25], v[132:133], v[24:25]
	v_fma_f64 v[132:133], v[243:244], s[10:11], -v[179:180]
	v_add_f64 v[26:27], v[132:133], v[26:27]
	v_fma_f64 v[132:133], v[239:240], s[20:21], v[189:190]
	v_add_f64 v[96:97], v[132:133], v[96:97]
	v_fma_f64 v[132:133], v[243:244], s[20:21], -v[197:198]
	v_add_f64 v[98:99], v[132:133], v[98:99]
	v_fma_f64 v[132:133], v[239:240], s[2:3], -v[126:127]
	v_fma_f64 v[126:127], v[239:240], s[2:3], v[126:127]
	v_add_f64 v[100:101], v[132:133], v[100:101]
	v_fma_f64 v[132:133], v[243:244], s[2:3], v[124:125]
	v_fma_f64 v[124:125], v[243:244], s[2:3], -v[124:125]
	v_add_f64 v[2:3], v[126:127], v[2:3]
	v_mul_f64 v[126:127], v[157:158], s[30:31]
	v_mul_f64 v[157:158], v[157:158], s[24:25]
	v_add_f64 v[102:103], v[132:133], v[102:103]
	v_add_f64 v[0:1], v[124:125], v[0:1]
	;; [unrolled: 1-line block ×3, first 2 shown]
	v_mul_f64 v[124:125], v[163:164], s[30:31]
	v_fma_f64 v[136:137], v[132:133], s[16:17], v[124:125]
	v_add_f64 v[4:5], v[136:137], v[4:5]
	v_fma_f64 v[136:137], v[134:135], s[16:17], -v[126:127]
	v_add_f64 v[6:7], v[136:137], v[6:7]
	v_mul_f64 v[136:137], v[163:164], s[28:29]
	v_fma_f64 v[146:147], v[132:133], s[2:3], v[136:137]
	v_add_f64 v[8:9], v[146:147], v[8:9]
	v_fma_f64 v[146:147], v[134:135], s[2:3], -v[144:145]
	v_add_f64 v[10:11], v[146:147], v[10:11]
	v_mul_f64 v[146:147], v[163:164], s[38:39]
	v_mul_f64 v[163:164], v[163:164], s[24:25]
	v_fma_f64 v[167:168], v[132:133], s[4:5], v[146:147]
	v_add_f64 v[12:13], v[167:168], v[12:13]
	v_fma_f64 v[167:168], v[134:135], s[4:5], -v[177:178]
	v_add_f64 v[14:15], v[167:168], v[14:15]
	v_fma_f64 v[167:168], v[132:133], s[22:23], v[185:186]
	v_add_f64 v[16:17], v[167:168], v[16:17]
	v_fma_f64 v[167:168], v[134:135], s[22:23], -v[193:194]
	v_add_f64 v[18:19], v[167:168], v[18:19]
	;; [unrolled: 4-line block ×3, first 2 shown]
	v_fma_f64 v[167:168], v[132:133], s[20:21], v[203:204]
	v_add_f64 v[229:230], v[167:168], v[24:25]
	v_fma_f64 v[24:25], v[134:135], s[20:21], -v[205:206]
	v_mul_f64 v[167:168], v[233:234], s[36:37]
	v_add_f64 v[231:232], v[24:25], v[26:27]
	v_fma_f64 v[24:25], v[132:133], s[10:11], v[207:208]
	v_fma_f64 v[26:27], v[134:135], s[10:11], -v[209:210]
	v_add_f64 v[24:25], v[24:25], v[96:97]
	v_fma_f64 v[96:97], v[132:133], s[18:19], -v[163:164]
	v_add_f64 v[26:27], v[26:27], v[98:99]
	v_fma_f64 v[98:99], v[134:135], s[18:19], v[157:158]
	v_add_f64 v[96:97], v[96:97], v[100:101]
	v_fma_f64 v[100:101], v[132:133], s[18:19], v[163:164]
	v_add_f64 v[98:99], v[98:99], v[102:103]
	v_add_f64 v[163:164], v[38:39], v[46:47]
	;; [unrolled: 1-line block ×3, first 2 shown]
	v_fma_f64 v[2:3], v[134:135], s[18:19], -v[157:158]
	v_add_f64 v[157:158], v[36:37], v[44:45]
	v_add_f64 v[102:103], v[2:3], v[0:1]
	v_fma_f64 v[0:1], v[157:158], s[20:21], v[167:168]
	v_fma_f64 v[2:3], v[163:164], s[20:21], -v[169:170]
	v_add_f64 v[0:1], v[0:1], v[4:5]
	v_fma_f64 v[4:5], v[157:158], s[0:1], v[173:174]
	v_add_f64 v[2:3], v[2:3], v[6:7]
	v_fma_f64 v[6:7], v[163:164], s[0:1], -v[187:188]
	v_add_f64 v[4:5], v[4:5], v[8:9]
	v_fma_f64 v[8:9], v[157:158], s[16:17], v[191:192]
	v_add_f64 v[6:7], v[6:7], v[10:11]
	;; [unrolled: 4-line block ×3, first 2 shown]
	v_fma_f64 v[14:15], v[163:164], s[10:11], -v[217:218]
	v_add_f64 v[245:246], v[12:13], v[16:17]
	v_fma_f64 v[16:17], v[157:158], s[22:23], v[219:220]
	v_mov_b32_e32 v12, v3
	v_mov_b32_e32 v11, v2
	v_mov_b32_e32 v10, v1
	v_mov_b32_e32 v9, v0
	v_add_f64 v[247:248], v[14:15], v[18:19]
	v_fma_f64 v[18:19], v[163:164], s[22:23], -v[221:222]
	v_add_f64 v[0:1], v[16:17], v[20:21]
	v_fma_f64 v[20:21], v[157:158], s[2:3], v[223:224]
	v_mov_b32_e32 v16, v7
	v_mov_b32_e32 v15, v6
	;; [unrolled: 1-line block ×4, first 2 shown]
	v_add_f64 v[2:3], v[18:19], v[22:23]
	v_fma_f64 v[22:23], v[163:164], s[2:3], -v[225:226]
	v_add_f64 v[4:5], v[20:21], v[229:230]
	v_mul_f64 v[229:230], v[233:234], s[24:25]
	v_mul_f64 v[233:234], v[233:234], s[44:45]
	v_mov_b32_e32 v17, v249
	v_mov_b32_e32 v18, v250
	;; [unrolled: 1-line block ×3, first 2 shown]
	v_add_f64 v[6:7], v[22:23], v[231:232]
	v_mul_f64 v[231:232], v[227:228], s[24:25]
	v_mul_f64 v[227:228], v[227:228], s[44:45]
	v_fma_f64 v[237:238], v[157:158], s[18:19], v[229:230]
	v_mov_b32_e32 v20, v252
	v_mov_b32_e32 v252, v3
	;; [unrolled: 1-line block ×5, first 2 shown]
	v_mul_lo_u16_e32 v21, 17, v255
	buffer_store_dword v4, off, s[64:67], 0 ; 4-byte Folded Spill
	s_nop 0
	buffer_store_dword v5, off, s[64:67], 0 offset:4 ; 4-byte Folded Spill
	buffer_store_dword v6, off, s[64:67], 0 offset:8 ; 4-byte Folded Spill
	;; [unrolled: 1-line block ×3, first 2 shown]
	v_add_f64 v[24:25], v[237:238], v[24:25]
	v_fma_f64 v[237:238], v[163:164], s[18:19], -v[231:232]
	s_waitcnt vmcnt(0) lgkmcnt(0)
	s_barrier
	v_add_f64 v[26:27], v[237:238], v[26:27]
	v_fma_f64 v[237:238], v[157:158], s[4:5], -v[233:234]
	v_fma_f64 v[233:234], v[157:158], s[4:5], v[233:234]
	v_add_f64 v[96:97], v[237:238], v[96:97]
	v_fma_f64 v[237:238], v[163:164], s[4:5], v[227:228]
	v_fma_f64 v[227:228], v[163:164], s[4:5], -v[227:228]
	v_add_f64 v[100:101], v[233:234], v[100:101]
	v_add_f64 v[98:99], v[237:238], v[98:99]
	;; [unrolled: 1-line block ×3, first 2 shown]
	s_and_saveexec_b64 s[24:25], vcc
	s_cbranch_execz .LBB0_7
; %bb.6:
	buffer_load_dword v0, off, s[64:67], 0 offset:476 ; 4-byte Folded Reload
	buffer_load_dword v1, off, s[64:67], 0 offset:480 ; 4-byte Folded Reload
	v_add_f64 v[78:79], v[30:31], v[78:79]
	v_add_f64 v[76:77], v[28:29], v[76:77]
	;; [unrolled: 1-line block ×4, first 2 shown]
	v_mul_f64 v[82:83], v[243:244], s[20:21]
	v_add_f64 v[78:79], v[78:79], v[86:87]
	v_add_f64 v[76:77], v[76:77], v[84:85]
	v_mul_f64 v[86:87], v[215:216], s[0:1]
	v_add_f64 v[82:83], v[197:198], v[82:83]
	v_mul_f64 v[197:198], v[213:214], s[18:19]
	;; [unrolled: 2-line block ×8, first 2 shown]
	v_mul_f64 v[78:79], v[134:135], s[10:11]
	v_mul_f64 v[76:77], v[163:164], s[18:19]
	v_add_f64 v[42:43], v[80:81], v[42:43]
	v_add_f64 v[40:41], v[84:85], v[40:41]
	;; [unrolled: 1-line block ×4, first 2 shown]
	v_mul_f64 v[209:210], v[239:240], s[0:1]
	v_add_f64 v[34:35], v[42:43], v[34:35]
	v_add_f64 v[32:33], v[40:41], v[32:33]
	v_add_f64 v[84:85], v[209:210], -v[108:109]
	v_add_f64 v[34:35], v[34:35], v[38:39]
	v_add_f64 v[32:33], v[32:33], v[36:37]
	;; [unrolled: 1-line block ×6, first 2 shown]
	s_waitcnt vmcnt(0)
	v_add_f64 v[90:91], v[0:1], v[90:91]
	buffer_load_dword v0, off, s[64:67], 0 offset:372 ; 4-byte Folded Reload
	buffer_load_dword v1, off, s[64:67], 0 offset:376 ; 4-byte Folded Reload
	v_add_f64 v[34:35], v[34:35], v[54:55]
	v_add_f64 v[32:33], v[32:33], v[52:53]
	v_add_f64 v[34:35], v[34:35], v[58:59]
	v_add_f64 v[32:33], v[32:33], v[56:57]
	v_add_f64 v[34:35], v[34:35], v[62:63]
	v_add_f64 v[32:33], v[32:33], v[60:61]
	v_add_f64 v[34:35], v[34:35], v[66:67]
	v_add_f64 v[32:33], v[32:33], v[64:65]
	v_add_f64 v[54:55], v[34:35], v[70:71]
	v_add_f64 v[32:33], v[32:33], v[68:69]
	s_waitcnt vmcnt(0)
	v_add_f64 v[92:93], v[0:1], v[92:93]
	buffer_load_dword v0, off, s[64:67], 0 offset:252 ; 4-byte Folded Reload
	buffer_load_dword v1, off, s[64:67], 0 offset:256 ; 4-byte Folded Reload
	s_waitcnt vmcnt(0)
	v_add_f64 v[94:95], v[0:1], v[94:95]
	buffer_load_dword v0, off, s[64:67], 0 offset:468 ; 4-byte Folded Reload
	buffer_load_dword v1, off, s[64:67], 0 offset:472 ; 4-byte Folded Reload
	v_add_f64 v[94:95], v[30:31], v[94:95]
	v_add_f64 v[92:93], v[92:93], v[94:95]
	v_mul_f64 v[94:95], v[110:111], s[16:17]
	v_add_f64 v[90:91], v[90:91], v[92:93]
	v_mul_f64 v[92:93], v[128:129], s[2:3]
	;; [unrolled: 2-line block ×3, first 2 shown]
	v_add_f64 v[86:87], v[86:87], v[88:89]
	v_add_f64 v[90:91], v[90:91], -v[148:149]
	v_mul_f64 v[148:149], v[128:129], s[20:21]
	v_add_f64 v[82:83], v[82:83], v[86:87]
	v_add_f64 v[78:79], v[78:79], v[82:83]
	;; [unrolled: 1-line block ×3, first 2 shown]
	s_waitcnt vmcnt(0)
	v_add_f64 v[114:115], v[114:115], -v[0:1]
	buffer_load_dword v0, off, s[64:67], 0 offset:244 ; 4-byte Folded Reload
	buffer_load_dword v1, off, s[64:67], 0 offset:248 ; 4-byte Folded Reload
	s_waitcnt vmcnt(0)
	v_add_f64 v[94:95], v[94:95], -v[0:1]
	buffer_load_dword v0, off, s[64:67], 0 offset:364 ; 4-byte Folded Reload
	buffer_load_dword v1, off, s[64:67], 0 offset:368 ; 4-byte Folded Reload
	v_add_f64 v[94:95], v[28:29], v[94:95]
	s_waitcnt vmcnt(0)
	v_add_f64 v[92:93], v[92:93], -v[0:1]
	buffer_load_dword v0, off, s[64:67], 0 offset:452 ; 4-byte Folded Reload
	buffer_load_dword v1, off, s[64:67], 0 offset:456 ; 4-byte Folded Reload
	v_add_f64 v[92:93], v[92:93], v[94:95]
	v_mul_f64 v[94:95], v[181:182], s[22:23]
	v_add_f64 v[92:93], v[114:115], v[92:93]
	v_add_f64 v[94:95], v[94:95], -v[104:105]
	v_mul_f64 v[104:105], v[130:131], s[16:17]
	v_mul_f64 v[114:115], v[110:111], s[18:19]
	v_add_f64 v[92:93], v[94:95], v[92:93]
	v_mul_f64 v[94:95], v[239:240], s[20:21]
	v_add_f64 v[88:89], v[90:91], v[92:93]
	v_add_f64 v[94:95], v[94:95], -v[189:190]
	v_mul_f64 v[90:91], v[132:133], s[10:11]
	v_mul_f64 v[92:93], v[128:129], s[18:19]
	;; [unrolled: 1-line block ×3, first 2 shown]
	v_add_f64 v[86:87], v[94:95], v[88:89]
	v_add_f64 v[90:91], v[90:91], -v[207:208]
	v_mul_f64 v[88:89], v[157:158], s[18:19]
	v_mul_f64 v[207:208], v[243:244], s[18:19]
	v_add_f64 v[82:83], v[90:91], v[86:87]
	v_add_f64 v[88:89], v[88:89], -v[229:230]
	v_mul_f64 v[86:87], v[112:113], s[22:23]
	v_mul_f64 v[90:91], v[110:111], s[22:23]
	v_add_f64 v[118:119], v[118:119], v[207:208]
	v_mul_f64 v[207:208], v[163:164], s[0:1]
	v_add_f64 v[76:77], v[88:89], v[82:83]
	v_mul_f64 v[82:83], v[161:162], s[0:1]
	v_mul_f64 v[88:89], v[130:131], s[18:19]
	s_waitcnt vmcnt(0)
	v_add_f64 v[82:83], v[0:1], v[82:83]
	buffer_load_dword v0, off, s[64:67], 0 offset:228 ; 4-byte Folded Reload
	buffer_load_dword v1, off, s[64:67], 0 offset:232 ; 4-byte Folded Reload
	s_waitcnt vmcnt(0)
	v_add_f64 v[86:87], v[0:1], v[86:87]
	buffer_load_dword v0, off, s[64:67], 0 offset:340 ; 4-byte Folded Reload
	buffer_load_dword v1, off, s[64:67], 0 offset:344 ; 4-byte Folded Reload
	v_add_f64 v[86:87], v[30:31], v[86:87]
	s_waitcnt vmcnt(0)
	v_add_f64 v[88:89], v[0:1], v[88:89]
	buffer_load_dword v0, off, s[64:67], 0 offset:556 ; 4-byte Folded Reload
	buffer_load_dword v1, off, s[64:67], 0 offset:560 ; 4-byte Folded Reload
	v_add_f64 v[86:87], v[88:89], v[86:87]
	v_mul_f64 v[88:89], v[183:184], s[16:17]
	v_add_f64 v[82:83], v[82:83], v[86:87]
	v_mul_f64 v[86:87], v[215:216], s[4:5]
	;; [unrolled: 2-line block ×3, first 2 shown]
	s_waitcnt vmcnt(0)
	v_add_f64 v[88:89], v[0:1], v[88:89]
	buffer_load_dword v0, off, s[64:67], 0 offset:428 ; 4-byte Folded Reload
	buffer_load_dword v1, off, s[64:67], 0 offset:432 ; 4-byte Folded Reload
	v_add_f64 v[82:83], v[88:89], v[82:83]
	v_mul_f64 v[88:89], v[243:244], s[10:11]
	v_add_f64 v[82:83], v[86:87], v[82:83]
	v_add_f64 v[88:89], v[179:180], v[88:89]
	v_mul_f64 v[86:87], v[134:135], s[20:21]
	v_mul_f64 v[179:180], v[161:162], s[2:3]
	v_add_f64 v[82:83], v[88:89], v[82:83]
	v_add_f64 v[86:87], v[205:206], v[86:87]
	v_mul_f64 v[88:89], v[163:164], s[2:3]
	v_mul_f64 v[205:206], v[243:244], s[22:23]
	v_add_f64 v[82:83], v[86:87], v[82:83]
	v_mul_f64 v[86:87], v[159:160], s[0:1]
	v_add_f64 v[88:89], v[225:226], v[88:89]
	v_add_f64 v[82:83], v[88:89], v[82:83]
	s_waitcnt vmcnt(0)
	v_add_f64 v[86:87], v[86:87], -v[0:1]
	buffer_load_dword v0, off, s[64:67], 0 offset:196 ; 4-byte Folded Reload
	buffer_load_dword v1, off, s[64:67], 0 offset:200 ; 4-byte Folded Reload
	s_waitcnt vmcnt(0)
	v_add_f64 v[90:91], v[90:91], -v[0:1]
	buffer_load_dword v0, off, s[64:67], 0 offset:332 ; 4-byte Folded Reload
	buffer_load_dword v1, off, s[64:67], 0 offset:336 ; 4-byte Folded Reload
	v_add_f64 v[90:91], v[28:29], v[90:91]
	s_waitcnt vmcnt(0)
	v_add_f64 v[92:93], v[92:93], -v[0:1]
	buffer_load_dword v0, off, s[64:67], 0 offset:540 ; 4-byte Folded Reload
	buffer_load_dword v1, off, s[64:67], 0 offset:544 ; 4-byte Folded Reload
	v_add_f64 v[90:91], v[92:93], v[90:91]
	v_mul_f64 v[92:93], v[181:182], s[16:17]
	v_add_f64 v[86:87], v[86:87], v[90:91]
	v_mul_f64 v[90:91], v[213:214], s[4:5]
	v_add_f64 v[90:91], v[90:91], -v[138:139]
	v_mul_f64 v[138:139], v[130:131], s[20:21]
	s_waitcnt vmcnt(0)
	v_add_f64 v[92:93], v[92:93], -v[0:1]
	buffer_load_dword v0, off, s[64:67], 0 offset:404 ; 4-byte Folded Reload
	buffer_load_dword v1, off, s[64:67], 0 offset:408 ; 4-byte Folded Reload
	v_add_f64 v[86:87], v[92:93], v[86:87]
	v_mul_f64 v[92:93], v[239:240], s[10:11]
	v_add_f64 v[86:87], v[90:91], v[86:87]
	v_add_f64 v[92:93], v[92:93], -v[175:176]
	v_mul_f64 v[90:91], v[132:133], s[20:21]
	v_mul_f64 v[175:176], v[130:131], s[10:11]
	;; [unrolled: 1-line block ×3, first 2 shown]
	v_add_f64 v[86:87], v[92:93], v[86:87]
	v_add_f64 v[90:91], v[90:91], -v[203:204]
	v_mul_f64 v[203:204], v[215:216], s[16:17]
	v_mul_f64 v[92:93], v[157:158], s[2:3]
	v_add_f64 v[94:95], v[90:91], v[86:87]
	v_mul_f64 v[86:87], v[161:162], s[10:11]
	v_mul_f64 v[90:91], v[112:113], s[18:19]
	v_add_f64 v[92:93], v[92:93], -v[223:224]
	s_waitcnt vmcnt(0)
	v_add_f64 v[86:87], v[0:1], v[86:87]
	buffer_load_dword v0, off, s[64:67], 0 offset:180 ; 4-byte Folded Reload
	buffer_load_dword v1, off, s[64:67], 0 offset:184 ; 4-byte Folded Reload
	s_waitcnt vmcnt(0)
	v_add_f64 v[90:91], v[0:1], v[90:91]
	buffer_load_dword v0, off, s[64:67], 0 offset:300 ; 4-byte Folded Reload
	buffer_load_dword v1, off, s[64:67], 0 offset:304 ; 4-byte Folded Reload
	v_add_f64 v[90:91], v[30:31], v[90:91]
	s_waitcnt vmcnt(0)
	v_add_f64 v[104:105], v[0:1], v[104:105]
	buffer_load_dword v0, off, s[64:67], 0 offset:516 ; 4-byte Folded Reload
	buffer_load_dword v1, off, s[64:67], 0 offset:520 ; 4-byte Folded Reload
	v_add_f64 v[90:91], v[104:105], v[90:91]
	v_mul_f64 v[104:105], v[183:184], s[2:3]
	v_add_f64 v[86:87], v[86:87], v[90:91]
	v_mul_f64 v[90:91], v[215:216], s[20:21]
	;; [unrolled: 2-line block ×3, first 2 shown]
	s_waitcnt vmcnt(0)
	v_add_f64 v[104:105], v[0:1], v[104:105]
	buffer_load_dword v0, off, s[64:67], 0 offset:396 ; 4-byte Folded Reload
	buffer_load_dword v1, off, s[64:67], 0 offset:400 ; 4-byte Folded Reload
	v_add_f64 v[86:87], v[104:105], v[86:87]
	v_mul_f64 v[104:105], v[243:244], s[4:5]
	v_add_f64 v[86:87], v[90:91], v[86:87]
	v_add_f64 v[104:105], v[171:172], v[104:105]
	v_mul_f64 v[90:91], v[134:135], s[0:1]
	v_mul_f64 v[171:172], v[213:214], s[10:11]
	v_add_f64 v[86:87], v[104:105], v[86:87]
	v_add_f64 v[90:91], v[201:202], v[90:91]
	v_mul_f64 v[104:105], v[163:164], s[22:23]
	v_mul_f64 v[201:202], v[213:214], s[16:17]
	v_add_f64 v[86:87], v[90:91], v[86:87]
	v_mul_f64 v[90:91], v[159:160], s[10:11]
	v_add_f64 v[104:105], v[221:222], v[104:105]
	v_add_f64 v[86:87], v[104:105], v[86:87]
	s_waitcnt vmcnt(0)
	v_add_f64 v[90:91], v[90:91], -v[0:1]
	buffer_load_dword v0, off, s[64:67], 0 offset:164 ; 4-byte Folded Reload
	buffer_load_dword v1, off, s[64:67], 0 offset:168 ; 4-byte Folded Reload
	s_waitcnt vmcnt(0)
	v_add_f64 v[114:115], v[114:115], -v[0:1]
	buffer_load_dword v0, off, s[64:67], 0 offset:284 ; 4-byte Folded Reload
	buffer_load_dword v1, off, s[64:67], 0 offset:288 ; 4-byte Folded Reload
	v_add_f64 v[114:115], v[28:29], v[114:115]
	s_waitcnt vmcnt(0)
	v_add_f64 v[122:123], v[122:123], -v[0:1]
	buffer_load_dword v0, off, s[64:67], 0 offset:508 ; 4-byte Folded Reload
	buffer_load_dword v1, off, s[64:67], 0 offset:512 ; 4-byte Folded Reload
	v_add_f64 v[114:115], v[122:123], v[114:115]
	v_mul_f64 v[122:123], v[181:182], s[2:3]
	v_add_f64 v[90:91], v[90:91], v[114:115]
	v_mul_f64 v[114:115], v[213:214], s[20:21]
	v_add_f64 v[114:115], v[114:115], -v[120:121]
	v_mul_f64 v[120:121], v[239:240], s[4:5]
	v_add_f64 v[120:121], v[120:121], -v[165:166]
	v_mul_f64 v[165:166], v[112:113], s[0:1]
	s_waitcnt vmcnt(0)
	v_add_f64 v[122:123], v[122:123], -v[0:1]
	buffer_load_dword v0, off, s[64:67], 0 offset:380 ; 4-byte Folded Reload
	buffer_load_dword v1, off, s[64:67], 0 offset:384 ; 4-byte Folded Reload
	v_add_f64 v[90:91], v[122:123], v[90:91]
	v_mul_f64 v[122:123], v[112:113], s[4:5]
	v_add_f64 v[90:91], v[114:115], v[90:91]
	v_mul_f64 v[114:115], v[132:133], s[0:1]
	v_add_f64 v[90:91], v[120:121], v[90:91]
	v_add_f64 v[114:115], v[114:115], -v[199:200]
	v_mul_f64 v[199:200], v[215:216], s[18:19]
	v_mul_f64 v[120:121], v[157:158], s[22:23]
	v_add_f64 v[114:115], v[114:115], v[90:91]
	v_mul_f64 v[90:91], v[161:162], s[18:19]
	v_add_f64 v[120:121], v[120:121], -v[219:220]
	s_waitcnt vmcnt(0)
	v_add_f64 v[90:91], v[0:1], v[90:91]
	buffer_load_dword v0, off, s[64:67], 0 offset:148 ; 4-byte Folded Reload
	buffer_load_dword v1, off, s[64:67], 0 offset:152 ; 4-byte Folded Reload
	s_waitcnt vmcnt(0)
	v_add_f64 v[122:123], v[0:1], v[122:123]
	buffer_load_dword v0, off, s[64:67], 0 offset:268 ; 4-byte Folded Reload
	buffer_load_dword v1, off, s[64:67], 0 offset:272 ; 4-byte Folded Reload
	v_add_f64 v[122:123], v[30:31], v[122:123]
	s_waitcnt vmcnt(0)
	v_add_f64 v[138:139], v[0:1], v[138:139]
	buffer_load_dword v0, off, s[64:67], 0 offset:500 ; 4-byte Folded Reload
	buffer_load_dword v1, off, s[64:67], 0 offset:504 ; 4-byte Folded Reload
	v_add_f64 v[122:123], v[138:139], v[122:123]
	v_mul_f64 v[138:139], v[183:184], s[0:1]
	v_add_f64 v[90:91], v[90:91], v[122:123]
	v_mul_f64 v[122:123], v[215:216], s[2:3]
	;; [unrolled: 2-line block ×6, first 2 shown]
	s_waitcnt vmcnt(0)
	v_add_f64 v[138:139], v[0:1], v[138:139]
	buffer_load_dword v0, off, s[64:67], 0 offset:356 ; 4-byte Folded Reload
	buffer_load_dword v1, off, s[64:67], 0 offset:360 ; 4-byte Folded Reload
	v_add_f64 v[90:91], v[138:139], v[90:91]
	v_mul_f64 v[138:139], v[159:160], s[18:19]
	v_add_f64 v[90:91], v[116:117], v[90:91]
	v_mul_f64 v[116:117], v[134:135], s[22:23]
	v_add_f64 v[90:91], v[122:123], v[90:91]
	v_add_f64 v[116:117], v[193:194], v[116:117]
	v_mul_f64 v[193:194], v[183:184], s[4:5]
	v_mul_f64 v[122:123], v[163:164], s[10:11]
	v_add_f64 v[90:91], v[116:117], v[90:91]
	v_mul_f64 v[116:117], v[239:240], s[16:17]
	v_add_f64 v[122:123], v[217:218], v[122:123]
	v_add_f64 v[116:117], v[116:117], -v[152:153]
	v_mul_f64 v[152:153], v[132:133], s[22:23]
	v_add_f64 v[90:91], v[122:123], v[90:91]
	v_add_f64 v[152:153], v[152:153], -v[185:186]
	v_mul_f64 v[185:186], v[159:160], s[22:23]
	v_mul_f64 v[159:160], v[159:160], s[20:21]
	s_waitcnt vmcnt(0)
	v_add_f64 v[138:139], v[138:139], -v[0:1]
	buffer_load_dword v0, off, s[64:67], 0 offset:132 ; 4-byte Folded Reload
	buffer_load_dword v1, off, s[64:67], 0 offset:136 ; 4-byte Folded Reload
	s_waitcnt vmcnt(0)
	v_add_f64 v[140:141], v[140:141], -v[0:1]
	buffer_load_dword v0, off, s[64:67], 0 offset:260 ; 4-byte Folded Reload
	buffer_load_dword v1, off, s[64:67], 0 offset:264 ; 4-byte Folded Reload
	v_add_f64 v[140:141], v[28:29], v[140:141]
	s_waitcnt vmcnt(0)
	v_add_f64 v[148:149], v[148:149], -v[0:1]
	buffer_load_dword v0, off, s[64:67], 0 offset:484 ; 4-byte Folded Reload
	buffer_load_dword v1, off, s[64:67], 0 offset:488 ; 4-byte Folded Reload
	v_add_f64 v[140:141], v[148:149], v[140:141]
	v_mul_f64 v[148:149], v[181:182], s[0:1]
	v_add_f64 v[138:139], v[138:139], v[140:141]
	v_mul_f64 v[140:141], v[213:214], s[2:3]
	v_mul_f64 v[213:214], v[163:164], s[20:21]
	;; [unrolled: 1-line block ×3, first 2 shown]
	v_add_f64 v[106:107], v[140:141], -v[106:107]
	v_mul_f64 v[140:141], v[161:162], s[20:21]
	v_mul_f64 v[161:162], v[161:162], s[22:23]
	v_add_f64 v[80:81], v[195:196], v[163:164]
	s_waitcnt vmcnt(0)
	v_add_f64 v[148:149], v[148:149], -v[0:1]
	buffer_load_dword v0, off, s[64:67], 0 offset:348 ; 4-byte Folded Reload
	buffer_load_dword v1, off, s[64:67], 0 offset:352 ; 4-byte Folded Reload
	v_add_f64 v[138:139], v[148:149], v[138:139]
	v_mul_f64 v[148:149], v[112:113], s[2:3]
	v_mul_f64 v[112:113], v[112:113], s[10:11]
	v_add_f64 v[106:107], v[106:107], v[138:139]
	v_mul_f64 v[138:139], v[110:111], s[0:1]
	v_add_f64 v[106:107], v[116:117], v[106:107]
	v_mul_f64 v[116:117], v[110:111], s[10:11]
	v_mul_f64 v[110:111], v[110:111], s[2:3]
	v_add_f64 v[106:107], v[152:153], v[106:107]
	v_mul_f64 v[152:153], v[181:182], s[18:19]
	v_mul_f64 v[181:182], v[181:182], s[20:21]
	s_waitcnt vmcnt(0)
	v_add_f64 v[140:141], v[0:1], v[140:141]
	buffer_load_dword v0, off, s[64:67], 0 offset:84 ; 4-byte Folded Reload
	buffer_load_dword v1, off, s[64:67], 0 offset:88 ; 4-byte Folded Reload
	s_waitcnt vmcnt(0)
	v_add_f64 v[148:149], v[0:1], v[148:149]
	buffer_load_dword v0, off, s[64:67], 0 offset:236 ; 4-byte Folded Reload
	buffer_load_dword v1, off, s[64:67], 0 offset:240 ; 4-byte Folded Reload
	v_add_f64 v[148:149], v[30:31], v[148:149]
	s_waitcnt vmcnt(0)
	v_add_f64 v[150:151], v[0:1], v[150:151]
	buffer_load_dword v0, off, s[64:67], 0 offset:460 ; 4-byte Folded Reload
	buffer_load_dword v1, off, s[64:67], 0 offset:464 ; 4-byte Folded Reload
	v_add_f64 v[148:149], v[150:151], v[148:149]
	v_mul_f64 v[150:151], v[183:184], s[18:19]
	v_mul_f64 v[183:184], v[183:184], s[20:21]
	v_add_f64 v[140:141], v[140:141], v[148:149]
	v_mul_f64 v[148:149], v[215:216], s[10:11]
	v_add_f64 v[148:149], v[253:254], v[148:149]
	s_waitcnt vmcnt(0)
	v_add_f64 v[150:151], v[0:1], v[150:151]
	buffer_load_dword v0, off, s[64:67], 0 offset:548 ; 4-byte Folded Reload
	buffer_load_dword v1, off, s[64:67], 0 offset:552 ; 4-byte Folded Reload
	v_add_f64 v[140:141], v[150:151], v[140:141]
	v_mul_f64 v[150:151], v[157:158], s[10:11]
	v_add_f64 v[140:141], v[148:149], v[140:141]
	v_mul_f64 v[148:149], v[128:129], s[10:11]
	v_add_f64 v[150:151], v[150:151], -v[211:212]
	v_mul_f64 v[211:212], v[134:135], s[16:17]
	v_mul_f64 v[134:135], v[134:135], s[2:3]
	v_add_f64 v[140:141], v[142:143], v[140:141]
	v_mul_f64 v[142:143], v[128:129], s[4:5]
	v_mul_f64 v[128:129], v[128:129], s[22:23]
	v_add_f64 v[108:109], v[154:155], v[140:141]
	s_waitcnt vmcnt(0)
	v_add_f64 v[171:172], v[171:172], -v[0:1]
	buffer_load_dword v0, off, s[64:67], 0 offset:436 ; 4-byte Folded Reload
	buffer_load_dword v1, off, s[64:67], 0 offset:440 ; 4-byte Folded Reload
	s_waitcnt vmcnt(0)
	v_add_f64 v[152:153], v[152:153], -v[0:1]
	buffer_load_dword v0, off, s[64:67], 0 offset:60 ; 4-byte Folded Reload
	buffer_load_dword v1, off, s[64:67], 0 offset:64 ; 4-byte Folded Reload
	;; [unrolled: 4-line block ×3, first 2 shown]
	v_add_f64 v[110:111], v[28:29], v[110:111]
	s_waitcnt vmcnt(0)
	v_add_f64 v[128:129], v[128:129], -v[0:1]
	buffer_load_dword v0, off, s[64:67], 0 offset:52 ; 4-byte Folded Reload
	buffer_load_dword v1, off, s[64:67], 0 offset:56 ; 4-byte Folded Reload
	v_add_f64 v[110:111], v[128:129], v[110:111]
	v_mul_f64 v[128:129], v[239:240], s[22:23]
	s_waitcnt vmcnt(0)
	v_add_f64 v[112:113], v[0:1], v[112:113]
	buffer_load_dword v0, off, s[64:67], 0 offset:292 ; 4-byte Folded Reload
	buffer_load_dword v1, off, s[64:67], 0 offset:296 ; 4-byte Folded Reload
	v_add_f64 v[112:113], v[30:31], v[112:113]
	s_waitcnt vmcnt(0)
	v_add_f64 v[159:160], v[159:160], -v[0:1]
	buffer_load_dword v0, off, s[64:67], 0 offset:172 ; 4-byte Folded Reload
	buffer_load_dword v1, off, s[64:67], 0 offset:176 ; 4-byte Folded Reload
	v_add_f64 v[110:111], v[159:160], v[110:111]
	v_mul_f64 v[159:160], v[132:133], s[16:17]
	v_add_f64 v[110:111], v[152:153], v[110:111]
	v_mul_f64 v[152:153], v[157:158], s[20:21]
	v_add_f64 v[104:105], v[171:172], v[110:111]
	v_add_f64 v[110:111], v[144:145], v[134:135]
	v_add_f64 v[52:53], v[152:153], -v[167:168]
	v_add_f64 v[42:43], v[84:85], v[104:105]
	v_add_f64 v[84:85], v[187:188], v[207:208]
	s_waitcnt vmcnt(0)
	v_add_f64 v[130:131], v[0:1], v[130:131]
	buffer_load_dword v0, off, s[64:67], 0 offset:276 ; 4-byte Folded Reload
	buffer_load_dword v1, off, s[64:67], 0 offset:280 ; 4-byte Folded Reload
	v_add_f64 v[112:113], v[130:131], v[112:113]
	v_mul_f64 v[130:131], v[239:240], s[18:19]
	s_waitcnt vmcnt(0)
	v_add_f64 v[161:162], v[0:1], v[161:162]
	buffer_load_dword v0, off, s[64:67], 0 offset:388 ; 4-byte Folded Reload
	buffer_load_dword v1, off, s[64:67], 0 offset:392 ; 4-byte Folded Reload
	v_add_f64 v[112:113], v[161:162], v[112:113]
	v_mul_f64 v[161:162], v[132:133], s[2:3]
	v_mul_f64 v[132:133], v[132:133], s[4:5]
	v_add_f64 v[40:41], v[132:133], -v[146:147]
	s_waitcnt vmcnt(0)
	v_add_f64 v[183:184], v[0:1], v[183:184]
	buffer_load_dword v0, off, s[64:67], 0 offset:492 ; 4-byte Folded Reload
	buffer_load_dword v1, off, s[64:67], 0 offset:496 ; 4-byte Folded Reload
	v_add_f64 v[112:113], v[183:184], v[112:113]
	v_mul_f64 v[183:184], v[157:158], s[0:1]
	v_mul_f64 v[157:158], v[157:158], s[16:17]
	s_waitcnt vmcnt(0)
	v_add_f64 v[203:204], v[0:1], v[203:204]
	buffer_load_dword v0, off, s[64:67], 0 offset:28 ; 4-byte Folded Reload
	buffer_load_dword v1, off, s[64:67], 0 offset:32 ; 4-byte Folded Reload
	v_add_f64 v[88:89], v[203:204], v[112:113]
	v_add_f64 v[112:113], v[157:158], -v[191:192]
	v_add_f64 v[88:89], v[118:119], v[88:89]
	v_add_f64 v[88:89], v[110:111], v[88:89]
	;; [unrolled: 1-line block ×5, first 2 shown]
	s_waitcnt vmcnt(0)
	v_add_f64 v[104:105], v[0:1], v[165:166]
	buffer_load_dword v0, off, s[64:67], 0 offset:20 ; 4-byte Folded Reload
	buffer_load_dword v1, off, s[64:67], 0 offset:24 ; 4-byte Folded Reload
	v_add_f64 v[30:31], v[30:31], v[104:105]
	s_waitcnt vmcnt(0)
	v_add_f64 v[36:37], v[138:139], -v[0:1]
	buffer_load_dword v0, off, s[64:67], 0 offset:44 ; 4-byte Folded Reload
	buffer_load_dword v1, off, s[64:67], 0 offset:48 ; 4-byte Folded Reload
	v_add_f64 v[36:37], v[28:29], v[36:37]
	s_waitcnt vmcnt(0)
	v_add_f64 v[38:39], v[116:117], -v[0:1]
	;; [unrolled: 5-line block ×3, first 2 shown]
	buffer_load_dword v0, off, s[64:67], 0 offset:100 ; 4-byte Folded Reload
	buffer_load_dword v1, off, s[64:67], 0 offset:104 ; 4-byte Folded Reload
	v_add_f64 v[28:29], v[110:111], v[28:29]
	s_waitcnt vmcnt(0)
	v_add_f64 v[116:117], v[0:1], v[175:176]
	buffer_load_dword v0, off, s[64:67], 0 offset:68 ; 4-byte Folded Reload
	buffer_load_dword v1, off, s[64:67], 0 offset:72 ; 4-byte Folded Reload
	v_add_f64 v[30:31], v[116:117], v[30:31]
	s_waitcnt vmcnt(0)
	v_add_f64 v[104:105], v[148:149], -v[0:1]
	buffer_load_dword v0, off, s[64:67], 0 offset:220 ; 4-byte Folded Reload
	buffer_load_dword v1, off, s[64:67], 0 offset:224 ; 4-byte Folded Reload
	v_add_f64 v[36:37], v[104:105], v[36:37]
	s_waitcnt vmcnt(0)
	v_add_f64 v[38:39], v[185:186], -v[0:1]
	buffer_load_dword v0, off, s[64:67], 0 offset:212 ; 4-byte Folded Reload
	buffer_load_dword v1, off, s[64:67], 0 offset:216 ; 4-byte Folded Reload
	v_add_f64 v[28:29], v[38:39], v[28:29]
	s_waitcnt vmcnt(0)
	v_add_f64 v[44:45], v[0:1], v[179:180]
	buffer_load_dword v0, off, s[64:67], 0 offset:204 ; 4-byte Folded Reload
	buffer_load_dword v1, off, s[64:67], 0 offset:208 ; 4-byte Folded Reload
	v_add_f64 v[30:31], v[44:45], v[30:31]
	s_waitcnt vmcnt(0)
	v_add_f64 v[46:47], v[177:178], -v[0:1]
	buffer_load_dword v0, off, s[64:67], 0 offset:324 ; 4-byte Folded Reload
	buffer_load_dword v1, off, s[64:67], 0 offset:328 ; 4-byte Folded Reload
	v_add_f64 v[36:37], v[46:47], v[36:37]
	s_waitcnt vmcnt(0)
	v_add_f64 v[48:49], v[181:182], -v[0:1]
	buffer_load_dword v0, off, s[64:67], 0 offset:316 ; 4-byte Folded Reload
	buffer_load_dword v1, off, s[64:67], 0 offset:320 ; 4-byte Folded Reload
	v_add_f64 v[28:29], v[48:49], v[28:29]
	s_waitcnt vmcnt(0)
	v_add_f64 v[50:51], v[0:1], v[193:194]
	buffer_load_dword v0, off, s[64:67], 0 offset:308 ; 4-byte Folded Reload
	buffer_load_dword v1, off, s[64:67], 0 offset:312 ; 4-byte Folded Reload
	v_add_f64 v[30:31], v[50:51], v[30:31]
	s_waitcnt vmcnt(0)
	v_add_f64 v[44:45], v[189:190], -v[0:1]
	buffer_load_dword v0, off, s[64:67], 0 offset:444 ; 4-byte Folded Reload
	buffer_load_dword v1, off, s[64:67], 0 offset:448 ; 4-byte Folded Reload
	v_add_f64 v[36:37], v[44:45], v[36:37]
	v_add_f64 v[44:45], v[130:131], -v[241:242]
	s_waitcnt vmcnt(0)
	v_add_f64 v[38:39], v[201:202], -v[0:1]
	buffer_load_dword v0, off, s[64:67], 0 offset:420 ; 4-byte Folded Reload
	buffer_load_dword v1, off, s[64:67], 0 offset:424 ; 4-byte Folded Reload
	v_add_f64 v[28:29], v[38:39], v[28:29]
	v_add_f64 v[38:39], v[161:162], -v[136:137]
	v_add_f64 v[28:29], v[44:45], v[28:29]
	v_add_f64 v[44:45], v[183:184], -v[173:174]
	v_add_f64 v[28:29], v[38:39], v[28:29]
	s_waitcnt vmcnt(0)
	v_add_f64 v[46:47], v[0:1], v[199:200]
	buffer_load_dword v0, off, s[64:67], 0 offset:412 ; 4-byte Folded Reload
	buffer_load_dword v1, off, s[64:67], 0 offset:416 ; 4-byte Folded Reload
	v_add_f64 v[30:31], v[46:47], v[30:31]
	s_waitcnt vmcnt(0)
	v_add_f64 v[50:51], v[197:198], -v[0:1]
	buffer_load_dword v0, off, s[64:67], 0 offset:532 ; 4-byte Folded Reload
	buffer_load_dword v1, off, s[64:67], 0 offset:536 ; 4-byte Folded Reload
	v_add_f64 v[36:37], v[50:51], v[36:37]
	v_add_f64 v[50:51], v[126:127], v[211:212]
	s_waitcnt vmcnt(0)
	v_add_f64 v[48:49], v[0:1], v[205:206]
	buffer_load_dword v0, off, s[64:67], 0 offset:524 ; 4-byte Folded Reload
	buffer_load_dword v1, off, s[64:67], 0 offset:528 ; 4-byte Folded Reload
	v_add_f64 v[30:31], v[48:49], v[30:31]
	v_add_f64 v[48:49], v[159:160], -v[124:125]
	v_add_f64 v[50:51], v[50:51], v[30:31]
	v_add_f64 v[30:31], v[80:81], v[108:109]
	;; [unrolled: 1-line block ×3, first 2 shown]
	s_waitcnt vmcnt(0)
	v_add_f64 v[46:47], v[128:129], -v[0:1]
	v_add_lshl_u32 v0, v236, v21, 4
	v_add_f64 v[36:37], v[46:47], v[36:37]
	v_add_f64 v[46:47], v[169:170], v[213:214]
	;; [unrolled: 1-line block ×10, first 2 shown]
	ds_write_b128 v0, v[40:43]
	ds_write_b128 v0, v[36:39] offset:16
	ds_write_b128 v0, v[32:35] offset:32
	;; [unrolled: 1-line block ×10, first 2 shown]
	buffer_load_dword v1, off, s[64:67], 0  ; 4-byte Folded Reload
	buffer_load_dword v2, off, s[64:67], 0 offset:4 ; 4-byte Folded Reload
	buffer_load_dword v3, off, s[64:67], 0 offset:8 ; 4-byte Folded Reload
	;; [unrolled: 1-line block ×3, first 2 shown]
	s_waitcnt vmcnt(0)
	ds_write_b128 v0, v[1:4] offset:176
	ds_write_b128 v0, v[249:252] offset:192
	;; [unrolled: 1-line block ×6, first 2 shown]
.LBB0_7:
	s_or_b64 exec, exec, s[24:25]
	v_add_lshl_u32 v222, v236, v255, 4
	s_waitcnt lgkmcnt(0)
	s_barrier
	ds_read_b128 v[48:51], v222
	ds_read_b128 v[52:55], v222 offset:544
	ds_read_b128 v[68:71], v222 offset:2448
	;; [unrolled: 1-line block ×7, first 2 shown]
	v_cmp_gt_u16_e64 s[0:1], 17, v255
	s_and_saveexec_b64 s[2:3], s[0:1]
	s_cbranch_execz .LBB0_9
; %bb.8:
	ds_read_b128 v[96:99], v222 offset:2176
	ds_read_b128 v[100:103], v222 offset:4624
.LBB0_9:
	s_or_b64 exec, exec, s[2:3]
	s_movk_i32 s2, 0xffef
	v_add_co_u32_e64 v0, s[2:3], s2, v255
	v_addc_co_u32_e64 v1, s[2:3], 0, -1, s[2:3]
	v_cndmask_b32_e64 v81, v1, 0, s[0:1]
	v_cndmask_b32_e64 v80, v0, v255, s[0:1]
	v_lshlrev_b64 v[28:29], 4, v[80:81]
	v_mov_b32_e32 v0, s9
	v_add_co_u32_e64 v28, s[2:3], s8, v28
	v_addc_co_u32_e64 v29, s[2:3], v0, v29, s[2:3]
	v_add_u16_e32 v0, 34, v255
	s_movk_i32 s2, 0xf1
	v_mul_lo_u16_sdwa v1, v0, s2 dst_sel:DWORD dst_unused:UNUSED_PAD src0_sel:BYTE_0 src1_sel:DWORD
	v_lshrrev_b16_e32 v1, 12, v1
	v_mul_lo_u16_e32 v2, 17, v1
	v_sub_u16_e32 v0, v0, v2
	v_mov_b32_e32 v2, 4
	v_lshlrev_b32_sdwa v3, v2, v0 dst_sel:DWORD dst_unused:UNUSED_PAD src0_sel:DWORD src1_sel:BYTE_0
	global_load_dwordx4 v[36:39], v[28:29], off
	global_load_dwordx4 v[32:35], v3, s[8:9]
	v_add_u16_e32 v3, 0x44, v255
	v_add_u16_e32 v6, 0x66, v255
	v_mul_lo_u16_sdwa v4, v3, s2 dst_sel:DWORD dst_unused:UNUSED_PAD src0_sel:BYTE_0 src1_sel:DWORD
	v_mul_lo_u16_sdwa v7, v6, s2 dst_sel:DWORD dst_unused:UNUSED_PAD src0_sel:BYTE_0 src1_sel:DWORD
	v_lshrrev_b16_e32 v4, 12, v4
	v_lshrrev_b16_e32 v7, 12, v7
	v_mul_lo_u16_e32 v5, 17, v4
	v_mul_lo_u16_e32 v8, 17, v7
	v_sub_u16_e32 v3, v3, v5
	v_sub_u16_e32 v6, v6, v8
	v_lshlrev_b32_sdwa v5, v2, v3 dst_sel:DWORD dst_unused:UNUSED_PAD src0_sel:DWORD src1_sel:BYTE_0
	v_lshlrev_b32_sdwa v2, v2, v6 dst_sel:DWORD dst_unused:UNUSED_PAD src0_sel:DWORD src1_sel:BYTE_0
	global_load_dwordx4 v[44:47], v5, s[8:9]
	global_load_dwordx4 v[40:43], v2, s[8:9]
	v_add_u16_e32 v2, 0x88, v255
	v_mul_lo_u16_sdwa v5, v2, s2 dst_sel:DWORD dst_unused:UNUSED_PAD src0_sel:BYTE_0 src1_sel:DWORD
	v_lshrrev_b16_e32 v5, 12, v5
	v_mul_lo_u16_e32 v5, 17, v5
	v_sub_u16_e32 v223, v2, v5
	v_and_b32_e32 v84, 0xff, v223
	v_lshlrev_b32_e32 v2, 4, v84
	global_load_dwordx4 v[224:227], v2, s[8:9]
	v_cmp_lt_u16_e64 s[2:3], 16, v255
	v_cndmask_b32_e64 v2, 0, 34, s[2:3]
	v_add_u32_e32 v2, v80, v2
	s_load_dwordx4 s[4:7], s[6:7], 0x0
	v_mul_u32_u24_e32 v4, 34, v4
	v_mul_u32_u24_e32 v5, 34, v7
	v_mad_legacy_u16 v0, v1, 34, v0
	v_add_lshl_u32 v230, v236, v2, 4
	v_add_u32_sdwa v1, v4, v3 dst_sel:DWORD dst_unused:UNUSED_PAD src0_sel:DWORD src1_sel:BYTE_0
	v_add_u32_sdwa v2, v5, v6 dst_sel:DWORD dst_unused:UNUSED_PAD src0_sel:DWORD src1_sel:BYTE_0
	v_and_b32_e32 v0, 0xff, v0
	v_add_lshl_u32 v229, v236, v1, 4
	v_add_lshl_u32 v228, v236, v2, 4
	;; [unrolled: 1-line block ×3, first 2 shown]
	s_waitcnt vmcnt(0) lgkmcnt(0)
	s_barrier
	v_mul_f64 v[80:81], v[70:71], v[38:39]
	v_mul_f64 v[82:83], v[68:69], v[38:39]
	;; [unrolled: 1-line block ×4, first 2 shown]
	v_fma_f64 v[68:69], v[68:69], v[36:37], -v[80:81]
	v_fma_f64 v[70:71], v[70:71], v[36:37], v[82:83]
	v_fma_f64 v[80:81], v[64:65], v[32:33], -v[85:86]
	v_fma_f64 v[82:83], v[66:67], v[32:33], v[87:88]
	v_mul_f64 v[89:90], v[78:79], v[46:47]
	v_mul_f64 v[91:92], v[76:77], v[46:47]
	v_mul_f64 v[93:94], v[74:75], v[42:43]
	v_mul_f64 v[104:105], v[72:73], v[42:43]
	v_add_f64 v[64:65], v[48:49], -v[68:69]
	v_add_f64 v[66:67], v[50:51], -v[70:71]
	;; [unrolled: 1-line block ×4, first 2 shown]
	v_fma_f64 v[76:77], v[76:77], v[44:45], -v[89:90]
	v_mul_f64 v[106:107], v[102:103], v[226:227]
	v_mul_f64 v[108:109], v[100:101], v[226:227]
	v_fma_f64 v[78:79], v[78:79], v[44:45], v[91:92]
	v_fma_f64 v[85:86], v[72:73], v[40:41], -v[93:94]
	v_fma_f64 v[87:88], v[74:75], v[40:41], v[104:105]
	v_fma_f64 v[48:49], v[48:49], 2.0, -v[64:65]
	v_fma_f64 v[50:51], v[50:51], 2.0, -v[66:67]
	v_add_f64 v[72:73], v[56:57], -v[76:77]
	v_fma_f64 v[89:90], v[100:101], v[224:225], -v[106:107]
	v_fma_f64 v[91:92], v[102:103], v[224:225], v[108:109]
	v_add_f64 v[74:75], v[58:59], -v[78:79]
	v_add_f64 v[76:77], v[60:61], -v[85:86]
	v_add_f64 v[78:79], v[62:63], -v[87:88]
	v_fma_f64 v[52:53], v[52:53], 2.0, -v[68:69]
	v_fma_f64 v[54:55], v[54:55], 2.0, -v[70:71]
	;; [unrolled: 1-line block ×3, first 2 shown]
	v_add_f64 v[80:81], v[96:97], -v[89:90]
	v_add_f64 v[82:83], v[98:99], -v[91:92]
	v_fma_f64 v[58:59], v[58:59], 2.0, -v[74:75]
	v_fma_f64 v[60:61], v[60:61], 2.0, -v[76:77]
	;; [unrolled: 1-line block ×3, first 2 shown]
	ds_write_b128 v230, v[64:67] offset:272
	ds_write_b128 v230, v[48:51]
	ds_write_b128 v231, v[52:55]
	ds_write_b128 v231, v[68:71] offset:272
	ds_write_b128 v229, v[56:59]
	ds_write_b128 v229, v[72:75] offset:272
	ds_write_b128 v228, v[60:63]
	ds_write_b128 v228, v[76:79] offset:272
	s_mov_b64 s[2:3], exec
	buffer_load_dword v1, off, s[64:67], 0  ; 4-byte Folded Reload
	buffer_load_dword v2, off, s[64:67], 0 offset:4 ; 4-byte Folded Reload
	buffer_load_dword v3, off, s[64:67], 0 offset:8 ; 4-byte Folded Reload
	;; [unrolled: 1-line block ×3, first 2 shown]
	s_and_b64 s[10:11], s[2:3], s[0:1]
	s_mov_b64 exec, s[10:11]
	s_cbranch_execz .LBB0_11
; %bb.10:
	v_fma_f64 v[50:51], v[98:99], 2.0, -v[82:83]
	v_fma_f64 v[48:49], v[96:97], 2.0, -v[80:81]
	v_add_lshl_u32 v0, v236, v84, 4
	ds_write_b128 v0, v[48:51] offset:4352
	ds_write_b128 v0, v[80:83] offset:4624
.LBB0_11:
	s_or_b64 exec, exec, s[2:3]
	v_lshlrev_b32_e32 v0, 7, v255
	s_waitcnt vmcnt(0) lgkmcnt(0)
	s_barrier
	global_load_dwordx4 v[60:63], v0, s[8:9] offset:272
	global_load_dwordx4 v[56:59], v0, s[8:9] offset:288
	;; [unrolled: 1-line block ×8, first 2 shown]
	ds_read_b128 v[84:87], v222
	ds_read_b128 v[88:91], v222 offset:544
	ds_read_b128 v[92:95], v222 offset:1088
	;; [unrolled: 1-line block ×8, first 2 shown]
	buffer_load_dword v0, off, s[64:67], 0 offset:16 ; 4-byte Folded Reload
	s_mov_b32 s24, 0xa2cf5039
	s_mov_b32 s11, 0x3fe491b7
	;; [unrolled: 1-line block ×16, first 2 shown]
	s_waitcnt vmcnt(8) lgkmcnt(7)
	v_mul_f64 v[120:121], v[90:91], v[62:63]
	v_mul_f64 v[122:123], v[88:89], v[62:63]
	s_waitcnt vmcnt(7) lgkmcnt(6)
	v_mul_f64 v[124:125], v[94:95], v[58:59]
	v_mul_f64 v[126:127], v[92:93], v[58:59]
	;; [unrolled: 3-line block ×3, first 2 shown]
	s_waitcnt vmcnt(5) lgkmcnt(4)
	v_mul_f64 v[132:133], v[102:103], v[50:51]
	s_waitcnt vmcnt(1) lgkmcnt(0)
	v_mul_f64 v[148:149], v[118:119], v[78:79]
	v_mul_f64 v[150:151], v[116:117], v[78:79]
	;; [unrolled: 1-line block ×7, first 2 shown]
	v_fma_f64 v[88:89], v[88:89], v[60:61], -v[120:121]
	v_fma_f64 v[90:91], v[90:91], v[60:61], v[122:123]
	v_fma_f64 v[116:117], v[116:117], v[76:77], -v[148:149]
	v_fma_f64 v[118:119], v[118:119], v[76:77], v[150:151]
	v_mul_f64 v[134:135], v[100:101], v[50:51]
	v_mul_f64 v[138:139], v[104:105], v[70:71]
	v_fma_f64 v[92:93], v[92:93], v[56:57], -v[124:125]
	v_fma_f64 v[94:95], v[94:95], v[56:57], v[126:127]
	v_fma_f64 v[96:97], v[96:97], v[52:53], -v[128:129]
	v_fma_f64 v[98:99], v[98:99], v[52:53], v[130:131]
	v_fma_f64 v[100:101], v[100:101], v[48:49], -v[132:133]
	v_fma_f64 v[112:113], v[112:113], v[72:73], -v[144:145]
	v_fma_f64 v[114:115], v[114:115], v[72:73], v[146:147]
	v_fma_f64 v[108:109], v[108:109], v[64:65], -v[140:141]
	v_fma_f64 v[110:111], v[110:111], v[64:65], v[142:143]
	v_fma_f64 v[104:105], v[104:105], v[68:69], -v[136:137]
	v_add_f64 v[120:121], v[88:89], v[116:117]
	v_add_f64 v[122:123], v[90:91], v[118:119]
	v_add_f64 v[116:117], v[88:89], -v[116:117]
	v_add_f64 v[118:119], v[90:91], -v[118:119]
	v_fma_f64 v[102:103], v[102:103], v[48:49], v[134:135]
	v_fma_f64 v[106:107], v[106:107], v[68:69], v[138:139]
	v_add_f64 v[124:125], v[92:93], v[112:113]
	v_add_f64 v[126:127], v[94:95], v[114:115]
	;; [unrolled: 1-line block ×4, first 2 shown]
	v_add_f64 v[88:89], v[92:93], -v[112:113]
	v_add_f64 v[90:91], v[94:95], -v[114:115]
	;; [unrolled: 1-line block ×5, first 2 shown]
	v_add_f64 v[98:99], v[100:101], v[104:105]
	v_mul_f64 v[112:113], v[116:117], s[10:11]
	v_mul_f64 v[114:115], v[118:119], s[10:11]
	v_fma_f64 v[132:133], v[120:121], s[24:25], v[84:85]
	s_mov_b32 s11, 0xbfe491b7
	v_add_f64 v[108:109], v[102:103], v[106:107]
	v_add_f64 v[110:111], v[102:103], -v[106:107]
	v_fma_f64 v[134:135], v[122:123], s[24:25], v[86:87]
	v_fma_f64 v[136:137], v[98:99], s[24:25], v[84:85]
	v_mul_f64 v[161:162], v[96:97], s[10:11]
	v_fma_f64 v[112:113], v[88:89], s[16:17], v[112:113]
	v_fma_f64 v[114:115], v[90:91], s[16:17], v[114:115]
	;; [unrolled: 1-line block ×4, first 2 shown]
	v_mul_f64 v[163:164], v[110:111], s[10:11]
	v_fma_f64 v[134:135], v[126:127], s[20:21], v[134:135]
	v_fma_f64 v[136:137], v[120:121], s[20:21], v[136:137]
	;; [unrolled: 1-line block ×5, first 2 shown]
	v_fma_f64 v[132:133], v[128:129], -0.5, v[132:133]
	v_add_f64 v[140:141], v[96:97], v[116:117]
	v_add_f64 v[142:143], v[110:111], v[118:119]
	v_add_f64 v[148:149], v[124:125], v[120:121]
	v_mul_f64 v[152:153], v[96:97], s[16:17]
	v_mul_f64 v[154:155], v[110:111], s[16:17]
	v_fma_f64 v[157:158], v[124:125], s[24:25], v[84:85]
	v_fma_f64 v[159:160], v[126:127], s[24:25], v[86:87]
	;; [unrolled: 1-line block ×4, first 2 shown]
	v_fma_f64 v[134:135], v[130:131], -0.5, v[134:135]
	v_fma_f64 v[136:137], v[128:129], -0.5, v[136:137]
	v_fma_f64 v[161:162], v[92:93], s[22:23], v[161:162]
	v_fma_f64 v[112:113], v[96:97], s[8:9], v[112:113]
	;; [unrolled: 1-line block ×4, first 2 shown]
	v_add_f64 v[150:151], v[126:127], v[122:123]
	v_add_f64 v[140:141], v[140:141], -v[88:89]
	v_add_f64 v[165:166], v[98:99], v[148:149]
	v_fma_f64 v[152:153], v[88:89], s[10:11], -v[152:153]
	v_fma_f64 v[154:155], v[90:91], s[10:11], -v[154:155]
	v_fma_f64 v[138:139], v[130:131], -0.5, v[138:139]
	v_fma_f64 v[163:164], v[94:95], s[22:23], v[163:164]
	v_fma_f64 v[114:115], v[108:109], s[18:19], v[134:135]
	;; [unrolled: 1-line block ×5, first 2 shown]
	v_add_f64 v[88:89], v[96:97], v[110:111]
	v_fma_f64 v[110:111], v[108:109], s[20:21], v[159:160]
	v_add_f64 v[144:145], v[84:85], v[128:129]
	v_add_f64 v[146:147], v[86:87], v[130:131]
	v_add_f64 v[142:143], v[142:143], -v[90:91]
	v_add_f64 v[148:149], v[128:129], v[148:149]
	v_add_f64 v[132:133], v[130:131], v[150:151]
	v_fma_f64 v[126:127], v[126:127], s[18:19], v[138:139]
	v_fma_f64 v[134:135], v[90:91], s[8:9], v[163:164]
	v_add_f64 v[90:91], v[114:115], -v[112:113]
	v_fma_f64 v[114:115], v[92:93], s[2:3], v[152:153]
	v_fma_f64 v[138:139], v[94:95], s[2:3], v[154:155]
	v_fma_f64 v[128:129], v[128:129], -0.5, v[98:99]
	v_fma_f64 v[110:111], v[130:131], -0.5, v[110:111]
	v_add_f64 v[108:109], v[108:109], v[150:151]
	v_add_f64 v[100:101], v[100:101], v[148:149]
	;; [unrolled: 1-line block ×3, first 2 shown]
	v_fma_f64 v[98:99], v[112:113], 2.0, v[90:91]
	v_add_f64 v[102:103], v[102:103], v[132:133]
	v_fma_f64 v[112:113], v[165:166], -0.5, v[144:145]
	v_fma_f64 v[114:115], v[116:117], s[8:9], v[114:115]
	v_fma_f64 v[124:125], v[118:119], s[8:9], v[138:139]
	;; [unrolled: 1-line block ×4, first 2 shown]
	v_fma_f64 v[108:109], v[108:109], -0.5, v[146:147]
	v_add_f64 v[94:95], v[126:127], -v[136:137]
	v_add_f64 v[118:119], v[104:105], v[100:101]
	v_add_f64 v[120:121], v[106:107], v[102:103]
	v_mul_f64 v[122:123], v[140:141], s[2:3]
	v_mul_f64 v[126:127], v[142:143], s[2:3]
	v_fma_f64 v[100:101], v[142:143], s[2:3], v[112:113]
	v_add_f64 v[104:105], v[124:125], v[116:117]
	v_add_f64 v[106:107], v[110:111], -v[114:115]
	v_fma_f64 v[102:103], v[140:141], s[22:23], v[108:109]
	v_fma_f64 v[96:97], v[96:97], -2.0, v[88:89]
	v_add_f64 v[84:85], v[84:85], v[118:119]
	v_add_f64 v[86:87], v[86:87], v[120:121]
	v_fma_f64 v[116:117], v[134:135], -2.0, v[92:93]
	v_fma_f64 v[118:119], v[136:137], 2.0, v[94:95]
	v_fma_f64 v[108:109], v[126:127], -2.0, v[100:101]
	v_fma_f64 v[112:113], v[124:125], -2.0, v[104:105]
	v_fma_f64 v[114:115], v[114:115], 2.0, v[106:107]
	v_fma_f64 v[110:111], v[122:123], 2.0, v[102:103]
	s_waitcnt vmcnt(0)
	v_lshl_add_u32 v221, v255, 4, v0
	ds_write_b128 v221, v[84:87]
	ds_write_b128 v221, v[88:91] offset:544
	ds_write_b128 v221, v[92:95] offset:1088
	;; [unrolled: 1-line block ×8, first 2 shown]
	s_waitcnt lgkmcnt(0)
	s_barrier
	s_and_saveexec_b64 s[8:9], vcc
	s_cbranch_execz .LBB0_13
; %bb.12:
	s_add_u32 s10, s12, 0x1320
	s_addc_u32 s11, s13, 0
	global_load_dwordx4 v[126:129], v235, s[10:11]
	ds_read_b128 v[122:125], v221
	v_add_co_u32_e64 v120, s[2:3], s10, v235
	v_mov_b32_e32 v0, s11
	v_addc_co_u32_e64 v121, s[2:3], 0, v0, s[2:3]
	s_movk_i32 s2, 0x1000
	v_add_co_u32_e64 v120, s[2:3], s2, v120
	v_addc_co_u32_e64 v121, s[2:3], 0, v121, s[2:3]
	v_or_b32_e32 v0, 0x1200, v235
	s_waitcnt vmcnt(0) lgkmcnt(0)
	v_mul_f64 v[130:131], v[124:125], v[128:129]
	v_fma_f64 v[130:131], v[122:123], v[126:127], -v[130:131]
	v_mul_f64 v[122:123], v[122:123], v[128:129]
	v_fma_f64 v[132:133], v[124:125], v[126:127], v[122:123]
	global_load_dwordx4 v[126:129], v235, s[10:11] offset:288
	ds_read_b128 v[122:125], v221 offset:288
	ds_write_b128 v221, v[130:133]
	s_waitcnt vmcnt(0) lgkmcnt(1)
	v_mul_f64 v[130:131], v[124:125], v[128:129]
	v_fma_f64 v[130:131], v[122:123], v[126:127], -v[130:131]
	v_mul_f64 v[122:123], v[122:123], v[128:129]
	v_fma_f64 v[132:133], v[124:125], v[126:127], v[122:123]
	global_load_dwordx4 v[126:129], v235, s[10:11] offset:576
	ds_read_b128 v[122:125], v221 offset:576
	ds_write_b128 v221, v[130:133] offset:288
	s_waitcnt vmcnt(0) lgkmcnt(1)
	v_mul_f64 v[130:131], v[124:125], v[128:129]
	v_fma_f64 v[130:131], v[122:123], v[126:127], -v[130:131]
	v_mul_f64 v[122:123], v[122:123], v[128:129]
	v_fma_f64 v[132:133], v[124:125], v[126:127], v[122:123]
	global_load_dwordx4 v[126:129], v235, s[10:11] offset:864
	ds_read_b128 v[122:125], v221 offset:864
	ds_write_b128 v221, v[130:133] offset:576
	;; [unrolled: 8-line block ×13, first 2 shown]
	s_waitcnt vmcnt(0) lgkmcnt(1)
	v_mul_f64 v[130:131], v[124:125], v[128:129]
	v_fma_f64 v[130:131], v[122:123], v[126:127], -v[130:131]
	v_mul_f64 v[122:123], v[122:123], v[128:129]
	v_fma_f64 v[132:133], v[124:125], v[126:127], v[122:123]
	global_load_dwordx4 v[126:129], v[120:121], off offset:224
	ds_read_b128 v[122:125], v221 offset:4320
	ds_write_b128 v221, v[130:133] offset:4032
	s_waitcnt vmcnt(0) lgkmcnt(1)
	v_mul_f64 v[120:121], v[124:125], v[128:129]
	v_fma_f64 v[120:121], v[122:123], v[126:127], -v[120:121]
	v_mul_f64 v[122:123], v[122:123], v[128:129]
	v_fma_f64 v[122:123], v[124:125], v[126:127], v[122:123]
	global_load_dwordx4 v[124:127], v0, s[10:11]
	ds_write_b128 v221, v[120:123] offset:4320
	ds_read_b128 v[120:123], v221 offset:4608
	s_waitcnt vmcnt(0) lgkmcnt(0)
	v_mul_f64 v[128:129], v[122:123], v[126:127]
	v_fma_f64 v[128:129], v[120:121], v[124:125], -v[128:129]
	v_mul_f64 v[120:121], v[120:121], v[126:127]
	v_fma_f64 v[130:131], v[122:123], v[124:125], v[120:121]
	ds_write_b128 v221, v[128:131] offset:4608
.LBB0_13:
	s_or_b64 exec, exec, s[8:9]
	s_waitcnt lgkmcnt(0)
	s_barrier
	s_and_saveexec_b64 s[2:3], vcc
	s_cbranch_execz .LBB0_15
; %bb.14:
	ds_read_b128 v[84:87], v221
	ds_read_b128 v[88:91], v221 offset:288
	ds_read_b128 v[92:95], v221 offset:576
	;; [unrolled: 1-line block ×16, first 2 shown]
.LBB0_15:
	s_or_b64 exec, exec, s[2:3]
	s_waitcnt lgkmcnt(0)
	v_add_f64 v[161:162], v[90:91], -v[11:12]
	v_add_f64 v[159:160], v[90:91], v[11:12]
	s_mov_b32 s8, 0xacd6c6b4
	s_mov_b32 s2, 0x7faef3
	;; [unrolled: 1-line block ×4, first 2 shown]
	v_add_f64 v[157:158], v[88:89], v[9:10]
	v_add_f64 v[195:196], v[88:89], -v[9:10]
	v_mul_f64 v[120:121], v[161:162], s[8:9]
	v_mul_f64 v[122:123], v[159:160], s[2:3]
	v_add_f64 v[167:168], v[94:95], -v[15:16]
	v_add_f64 v[165:166], v[94:95], v[15:16]
	s_mov_b32 s44, 0x5d8e7cdc
	s_mov_b32 s16, 0x370991
	;; [unrolled: 1-line block ×6, first 2 shown]
	v_fma_f64 v[124:125], v[157:158], s[2:3], v[120:121]
	v_fma_f64 v[126:127], v[195:196], s[52:53], v[122:123]
	v_fma_f64 v[120:121], v[157:158], s[2:3], -v[120:121]
	v_fma_f64 v[122:123], v[195:196], s[8:9], v[122:123]
	v_add_f64 v[163:164], v[92:93], v[13:14]
	v_add_f64 v[205:206], v[92:93], -v[13:14]
	v_mul_f64 v[128:129], v[167:168], s[44:45]
	v_mul_f64 v[130:131], v[165:166], s[16:17]
	v_add_f64 v[173:174], v[102:103], -v[19:20]
	v_add_f64 v[171:172], v[102:103], v[19:20]
	s_mov_b32 s20, 0x4363dd80
	s_mov_b32 s10, 0x910ea3b9
	s_mov_b32 s19, 0xbfd71e95
	s_mov_b32 s18, s44
	s_mov_b32 s21, 0xbfe0d888
	s_mov_b32 s11, 0xbfeb34fa
	v_add_f64 v[124:125], v[84:85], v[124:125]
	v_add_f64 v[126:127], v[86:87], v[126:127]
	v_add_f64 v[120:121], v[84:85], v[120:121]
	v_add_f64 v[122:123], v[86:87], v[122:123]
	v_fma_f64 v[132:133], v[163:164], s[16:17], v[128:129]
	v_fma_f64 v[134:135], v[205:206], s[18:19], v[130:131]
	v_fma_f64 v[128:129], v[163:164], s[16:17], -v[128:129]
	v_fma_f64 v[130:131], v[205:206], s[44:45], v[130:131]
	v_add_f64 v[169:170], v[100:101], v[17:18]
	v_add_f64 v[185:186], v[100:101], -v[17:18]
	v_mul_f64 v[136:137], v[173:174], s[20:21]
	v_mul_f64 v[138:139], v[171:172], s[10:11]
	v_add_f64 v[179:180], v[106:107], -v[247:248]
	v_add_f64 v[177:178], v[106:107], v[247:248]
	s_mov_b32 s56, 0x2a9d6da3
	s_mov_b32 s22, 0x75d4884
	s_mov_b32 s49, 0x3fe0d888
	s_mov_b32 s48, s20
	s_mov_b32 s57, 0x3fe58eea
	s_mov_b32 s23, 0x3fe7a5f6
	v_add_f64 v[124:125], v[132:133], v[124:125]
	v_add_f64 v[126:127], v[134:135], v[126:127]
	v_add_f64 v[120:121], v[128:129], v[120:121]
	v_add_f64 v[122:123], v[130:131], v[122:123]
	;; [unrolled: 20-line block ×6, first 2 shown]
	v_fma_f64 v[128:129], v[197:198], s[36:37], v[136:137]
	v_fma_f64 v[130:131], v[215:216], s[54:55], v[138:139]
	v_fma_f64 v[132:133], v[197:198], s[36:37], -v[136:137]
	v_fma_f64 v[134:135], v[215:216], s[40:41], v[138:139]
	v_add_f64 v[207:208], v[96:97], v[80:81]
	v_add_f64 v[219:220], v[96:97], -v[80:81]
	v_mul_f64 v[136:137], v[217:218], s[60:61]
	v_mul_f64 v[138:139], v[209:210], s[42:43]
	s_mov_b32 s47, 0xbfefdd0d
	s_mov_b32 s46, s60
	v_add_f64 v[124:125], v[128:129], v[124:125]
	v_add_f64 v[126:127], v[130:131], v[126:127]
	;; [unrolled: 1-line block ×4, first 2 shown]
	v_fma_f64 v[120:121], v[207:208], s[42:43], v[136:137]
	v_fma_f64 v[122:123], v[219:220], s[46:47], v[138:139]
	v_fma_f64 v[132:133], v[207:208], s[42:43], -v[136:137]
	v_fma_f64 v[134:135], v[219:220], s[60:61], v[138:139]
	s_barrier
	v_add_f64 v[120:121], v[120:121], v[124:125]
	v_add_f64 v[122:123], v[122:123], v[126:127]
	;; [unrolled: 1-line block ×4, first 2 shown]
	s_and_saveexec_b64 s[26:27], vcc
	s_cbranch_execz .LBB0_17
; %bb.16:
	v_mul_f64 v[128:129], v[195:196], s[20:21]
	v_mul_f64 v[134:135], v[161:162], s[20:21]
	;; [unrolled: 1-line block ×5, first 2 shown]
	buffer_store_dword v229, off, s[64:67], 0 offset:44 ; 4-byte Folded Spill
	buffer_store_dword v230, off, s[64:67], 0 offset:52 ; 4-byte Folded Spill
	;; [unrolled: 1-line block ×3, first 2 shown]
	v_mul_f64 v[233:234], v[173:174], s[46:47]
	v_fma_f64 v[144:145], v[159:160], s[10:11], v[128:129]
	v_fma_f64 v[150:151], v[157:158], s[10:11], -v[134:135]
	v_fma_f64 v[231:232], v[165:166], s[34:35], v[142:143]
	v_fma_f64 v[236:237], v[163:164], s[34:35], -v[148:149]
	v_mul_f64 v[140:141], v[193:194], s[58:59]
	v_mul_f64 v[238:239], v[179:180], s[58:59]
	v_fma_f64 v[128:129], v[159:160], s[10:11], -v[128:129]
	v_fma_f64 v[240:241], v[171:172], s[42:43], v[146:147]
	v_add_f64 v[144:145], v[86:87], v[144:145]
	v_add_f64 v[150:151], v[84:85], v[150:151]
	v_fma_f64 v[134:135], v[157:158], s[10:11], v[134:135]
	v_fma_f64 v[242:243], v[169:170], s[42:43], -v[233:234]
	v_mul_f64 v[138:139], v[201:202], s[18:19]
	v_mul_f64 v[229:230], v[191:192], s[18:19]
	v_fma_f64 v[142:143], v[165:166], s[34:35], -v[142:143]
	v_add_f64 v[128:129], v[86:87], v[128:129]
	v_add_f64 v[144:145], v[231:232], v[144:145]
	;; [unrolled: 1-line block ×3, first 2 shown]
	v_fma_f64 v[231:232], v[177:178], s[24:25], v[140:141]
	v_fma_f64 v[148:149], v[163:164], s[34:35], v[148:149]
	v_add_f64 v[134:135], v[84:85], v[134:135]
	v_mul_f64 v[136:137], v[211:212], s[8:9]
	v_mul_f64 v[154:155], v[203:204], s[8:9]
	v_fma_f64 v[236:237], v[183:184], s[16:17], v[138:139]
	v_add_f64 v[144:145], v[240:241], v[144:145]
	v_fma_f64 v[240:241], v[175:176], s[24:25], -v[238:239]
	v_add_f64 v[150:151], v[242:243], v[150:151]
	v_fma_f64 v[146:147], v[171:172], s[42:43], -v[146:147]
	v_add_f64 v[128:129], v[142:143], v[128:129]
	v_fma_f64 v[142:143], v[169:170], s[42:43], v[233:234]
	v_add_f64 v[134:135], v[148:149], v[134:135]
	v_mul_f64 v[130:131], v[215:216], s[56:57]
	v_add_f64 v[144:145], v[231:232], v[144:145]
	v_fma_f64 v[231:232], v[181:182], s[16:17], -v[229:230]
	v_add_f64 v[150:151], v[240:241], v[150:151]
	v_mul_f64 v[152:153], v[213:214], s[56:57]
	v_fma_f64 v[148:149], v[189:190], s[2:3], v[136:137]
	v_fma_f64 v[140:141], v[177:178], s[24:25], -v[140:141]
	v_add_f64 v[128:129], v[146:147], v[128:129]
	v_fma_f64 v[146:147], v[175:176], s[24:25], v[238:239]
	v_add_f64 v[134:135], v[142:143], v[134:135]
	v_add_f64 v[142:143], v[236:237], v[144:145]
	v_fma_f64 v[233:234], v[187:188], s[2:3], -v[154:155]
	v_add_f64 v[150:151], v[231:232], v[150:151]
	v_mul_f64 v[132:133], v[219:220], s[40:41]
	v_fma_f64 v[144:145], v[199:200], s[22:23], v[130:131]
	v_fma_f64 v[138:139], v[183:184], s[16:17], -v[138:139]
	v_add_f64 v[128:129], v[140:141], v[128:129]
	v_fma_f64 v[140:141], v[181:182], s[16:17], v[229:230]
	v_add_f64 v[134:135], v[146:147], v[134:135]
	v_add_f64 v[142:143], v[148:149], v[142:143]
	v_mul_f64 v[146:147], v[217:218], s[40:41]
	v_fma_f64 v[148:149], v[197:198], s[22:23], -v[152:153]
	v_add_f64 v[150:151], v[233:234], v[150:151]
	v_fma_f64 v[154:155], v[187:188], s[2:3], v[154:155]
	v_add_f64 v[128:129], v[138:139], v[128:129]
	v_fma_f64 v[138:139], v[209:210], s[36:37], v[132:133]
	v_add_f64 v[134:135], v[140:141], v[134:135]
	v_add_f64 v[140:141], v[144:145], v[142:143]
	v_fma_f64 v[142:143], v[207:208], s[36:37], -v[146:147]
	v_mul_f64 v[229:230], v[205:206], s[54:55]
	v_add_f64 v[144:145], v[148:149], v[150:151]
	v_mul_f64 v[242:243], v[167:168], s[54:55]
	v_fma_f64 v[136:137], v[189:190], s[2:3], -v[136:137]
	v_fma_f64 v[150:151], v[197:198], s[22:23], v[152:153]
	v_add_f64 v[134:135], v[154:155], v[134:135]
	v_add_f64 v[7:8], v[138:139], v[140:141]
	v_mul_f64 v[154:155], v[161:162], s[30:31]
	v_mul_f64 v[236:237], v[185:186], s[18:19]
	v_add_f64 v[5:6], v[142:143], v[144:145]
	v_mul_f64 v[144:145], v[195:196], s[30:31]
	v_fma_f64 v[148:149], v[199:200], s[22:23], -v[130:131]
	buffer_store_dword v5, off, s[64:67], 0 offset:68 ; 4-byte Folded Spill
	s_nop 0
	buffer_store_dword v6, off, s[64:67], 0 offset:72 ; 4-byte Folded Spill
	buffer_store_dword v7, off, s[64:67], 0 offset:76 ; 4-byte Folded Spill
	;; [unrolled: 1-line block ×4, first 2 shown]
	s_nop 0
	buffer_store_dword v246, off, s[64:67], 0 offset:88 ; 4-byte Folded Spill
	buffer_store_dword v247, off, s[64:67], 0 offset:92 ; 4-byte Folded Spill
	;; [unrolled: 1-line block ×3, first 2 shown]
	v_fma_f64 v[233:234], v[159:160], s[24:25], v[144:145]
	v_fma_f64 v[244:245], v[157:158], s[24:25], -v[154:155]
	buffer_store_dword v249, off, s[64:67], 0 offset:132 ; 4-byte Folded Spill
	s_nop 0
	buffer_store_dword v250, off, s[64:67], 0 offset:136 ; 4-byte Folded Spill
	buffer_store_dword v251, off, s[64:67], 0 offset:140 ; 4-byte Folded Spill
	;; [unrolled: 1-line block ×3, first 2 shown]
	v_fma_f64 v[246:247], v[165:166], s[36:37], v[229:230]
	v_fma_f64 v[144:145], v[159:160], s[24:25], -v[144:145]
	v_fma_f64 v[154:155], v[157:158], s[24:25], v[154:155]
	v_mul_f64 v[250:251], v[173:174], s[18:19]
	v_fma_f64 v[252:253], v[163:164], s[36:37], -v[242:243]
	v_add_f64 v[233:234], v[86:87], v[233:234]
	v_add_f64 v[244:245], v[84:85], v[244:245]
	buffer_store_dword v1, off, s[64:67], 0 ; 4-byte Folded Spill
	s_nop 0
	buffer_store_dword v2, off, s[64:67], 0 offset:4 ; 4-byte Folded Spill
	buffer_store_dword v3, off, s[64:67], 0 offset:8 ; 4-byte Folded Spill
	;; [unrolled: 1-line block ×5, first 2 shown]
	s_nop 0
	buffer_store_dword v225, off, s[64:67], 0 offset:32 ; 4-byte Folded Spill
	buffer_store_dword v226, off, s[64:67], 0 offset:36 ; 4-byte Folded Spill
	;; [unrolled: 1-line block ×3, first 2 shown]
	v_add_f64 v[136:137], v[136:137], v[128:129]
	v_add_f64 v[134:135], v[150:151], v[134:135]
	v_mul_f64 v[150:151], v[193:194], s[20:21]
	v_fma_f64 v[248:249], v[171:172], s[16:17], v[236:237]
	v_fma_f64 v[229:230], v[165:166], s[36:37], -v[229:230]
	v_add_f64 v[144:145], v[86:87], v[144:145]
	v_add_f64 v[233:234], v[246:247], v[233:234]
	v_fma_f64 v[242:243], v[163:164], s[36:37], v[242:243]
	v_add_f64 v[154:155], v[84:85], v[154:155]
	v_mul_f64 v[246:247], v[179:180], s[20:21]
	v_fma_f64 v[223:224], v[169:170], s[16:17], -v[250:251]
	v_add_f64 v[244:245], v[252:253], v[244:245]
	v_add_f64 v[136:137], v[148:149], v[136:137]
	v_mul_f64 v[148:149], v[201:202], s[60:61]
	v_fma_f64 v[240:241], v[177:178], s[10:11], v[150:151]
	v_fma_f64 v[236:237], v[171:172], s[16:17], -v[236:237]
	v_add_f64 v[144:145], v[229:230], v[144:145]
	v_add_f64 v[229:230], v[248:249], v[233:234]
	v_fma_f64 v[233:234], v[169:170], s[16:17], v[250:251]
	v_add_f64 v[154:155], v[242:243], v[154:155]
	v_mul_f64 v[242:243], v[191:192], s[60:61]
	v_fma_f64 v[248:249], v[175:176], s[10:11], -v[246:247]
	v_add_f64 v[223:224], v[223:224], v[244:245]
	v_mul_f64 v[142:143], v[211:212], s[28:29]
	v_fma_f64 v[238:239], v[183:184], s[42:43], v[148:149]
	v_fma_f64 v[150:151], v[177:178], s[10:11], -v[150:151]
	v_add_f64 v[144:145], v[236:237], v[144:145]
	v_add_f64 v[229:230], v[240:241], v[229:230]
	v_fma_f64 v[236:237], v[175:176], s[10:11], v[246:247]
	v_add_f64 v[154:155], v[233:234], v[154:155]
	v_mul_f64 v[233:234], v[203:204], s[28:29]
	v_fma_f64 v[240:241], v[181:182], s[42:43], -v[242:243]
	;; [unrolled: 10-line block ×3, first 2 shown]
	v_add_f64 v[223:224], v[240:241], v[223:224]
	v_fma_f64 v[132:133], v[209:210], s[36:37], -v[132:133]
	v_fma_f64 v[140:141], v[207:208], s[36:37], v[146:147]
	v_mul_f64 v[146:147], v[219:220], s[50:51]
	v_fma_f64 v[152:153], v[199:200], s[2:3], v[138:139]
	v_fma_f64 v[142:143], v[189:190], s[22:23], -v[142:143]
	v_add_f64 v[144:145], v[148:149], v[144:145]
	v_add_f64 v[148:149], v[231:232], v[150:151]
	v_fma_f64 v[150:151], v[187:188], s[22:23], v[233:234]
	v_add_f64 v[154:155], v[229:230], v[154:155]
	v_mul_f64 v[229:230], v[217:218], s[50:51]
	v_fma_f64 v[231:232], v[197:198], s[2:3], -v[236:237]
	v_add_f64 v[223:224], v[238:239], v[223:224]
	v_add_f64 v[2:3], v[132:133], v[136:137]
	;; [unrolled: 1-line block ×4, first 2 shown]
	v_fma_f64 v[144:145], v[209:210], s[34:35], v[146:147]
	v_add_f64 v[150:151], v[150:151], v[154:155]
	v_add_f64 v[148:149], v[152:153], v[148:149]
	v_fma_f64 v[152:153], v[207:208], s[34:35], -v[229:230]
	v_add_f64 v[154:155], v[231:232], v[223:224]
	v_fma_f64 v[138:139], v[199:200], s[2:3], -v[138:139]
	v_fma_f64 v[233:234], v[197:198], s[2:3], v[236:237]
	buffer_store_dword v0, off, s[64:67], 0 offset:116 ; 4-byte Folded Spill
	s_nop 0
	buffer_store_dword v1, off, s[64:67], 0 offset:120 ; 4-byte Folded Spill
	buffer_store_dword v2, off, s[64:67], 0 offset:124 ; 4-byte Folded Spill
	;; [unrolled: 1-line block ×3, first 2 shown]
	v_fma_f64 v[146:147], v[209:210], s[34:35], -v[146:147]
	v_fma_f64 v[223:224], v[207:208], s[34:35], v[229:230]
	v_add_f64 v[2:3], v[144:145], v[148:149]
	v_mul_f64 v[229:230], v[195:196], s[40:41]
	v_add_f64 v[0:1], v[152:153], v[154:155]
	v_add_f64 v[142:143], v[138:139], v[142:143]
	;; [unrolled: 1-line block ×3, first 2 shown]
	v_mul_f64 v[148:149], v[161:162], s[40:41]
	buffer_store_dword v0, off, s[64:67], 0 offset:100 ; 4-byte Folded Spill
	s_nop 0
	buffer_store_dword v1, off, s[64:67], 0 offset:104 ; 4-byte Folded Spill
	buffer_store_dword v2, off, s[64:67], 0 offset:108 ; 4-byte Folded Spill
	;; [unrolled: 1-line block ×3, first 2 shown]
	v_add_f64 v[2:3], v[146:147], v[142:143]
	v_mul_f64 v[146:147], v[205:206], s[48:49]
	v_add_f64 v[0:1], v[223:224], v[150:151]
	v_fma_f64 v[150:151], v[159:160], s[36:37], v[229:230]
	v_mul_f64 v[236:237], v[167:168], s[48:49]
	v_fma_f64 v[238:239], v[157:158], s[36:37], -v[148:149]
	v_mul_f64 v[223:224], v[185:186], s[56:57]
	v_fma_f64 v[229:230], v[159:160], s[36:37], -v[229:230]
	v_mul_f64 v[246:247], v[173:174], s[56:57]
	v_fma_f64 v[233:234], v[165:166], s[10:11], v[146:147]
	v_mul_f64 v[242:243], v[193:194], s[38:39]
	v_add_f64 v[150:151], v[86:87], v[150:151]
	v_fma_f64 v[248:249], v[163:164], s[10:11], -v[236:237]
	v_add_f64 v[238:239], v[84:85], v[238:239]
	v_fma_f64 v[244:245], v[171:172], s[22:23], v[223:224]
	v_fma_f64 v[146:147], v[165:166], s[10:11], -v[146:147]
	v_add_f64 v[229:230], v[86:87], v[229:230]
	v_mul_f64 v[252:253], v[179:180], s[38:39]
	v_fma_f64 v[225:226], v[169:170], s[22:23], -v[246:247]
	v_add_f64 v[150:151], v[233:234], v[150:151]
	v_mul_f64 v[233:234], v[201:202], s[8:9]
	v_add_f64 v[238:239], v[248:249], v[238:239]
	v_fma_f64 v[250:251], v[177:178], s[34:35], v[242:243]
	v_fma_f64 v[223:224], v[171:172], s[22:23], -v[223:224]
	v_fma_f64 v[148:149], v[157:158], s[36:37], v[148:149]
	v_add_f64 v[146:147], v[146:147], v[229:230]
	v_mul_f64 v[229:230], v[191:192], s[8:9]
	v_add_f64 v[150:151], v[244:245], v[150:151]
	v_fma_f64 v[248:249], v[175:176], s[34:35], -v[252:253]
	v_add_f64 v[225:226], v[225:226], v[238:239]
	v_mul_f64 v[152:153], v[211:212], s[60:61]
	v_fma_f64 v[244:245], v[183:184], s[2:3], v[233:234]
	v_fma_f64 v[238:239], v[177:178], s[34:35], -v[242:243]
	v_fma_f64 v[236:237], v[163:164], s[10:11], v[236:237]
	v_add_f64 v[148:149], v[84:85], v[148:149]
	v_add_f64 v[150:151], v[250:251], v[150:151]
	;; [unrolled: 1-line block ×3, first 2 shown]
	v_mul_f64 v[223:224], v[203:204], s[60:61]
	v_fma_f64 v[242:243], v[181:182], s[2:3], -v[229:230]
	v_add_f64 v[225:226], v[248:249], v[225:226]
	v_fma_f64 v[240:241], v[189:190], s[42:43], v[152:153]
	v_fma_f64 v[233:234], v[183:184], s[2:3], -v[233:234]
	v_add_f64 v[148:149], v[236:237], v[148:149]
	v_add_f64 v[150:151], v[244:245], v[150:151]
	v_fma_f64 v[244:245], v[169:170], s[22:23], v[246:247]
	v_add_f64 v[146:147], v[238:239], v[146:147]
	v_mul_f64 v[236:237], v[213:214], s[18:19]
	v_fma_f64 v[238:239], v[187:188], s[42:43], -v[223:224]
	v_add_f64 v[225:226], v[242:243], v[225:226]
	v_mul_f64 v[144:145], v[215:216], s[18:19]
	v_fma_f64 v[152:153], v[189:190], s[42:43], -v[152:153]
	v_add_f64 v[150:151], v[240:241], v[150:151]
	v_fma_f64 v[240:241], v[175:176], s[34:35], v[252:253]
	v_add_f64 v[148:149], v[244:245], v[148:149]
	v_add_f64 v[146:147], v[233:234], v[146:147]
	v_mul_f64 v[233:234], v[217:218], s[30:31]
	v_fma_f64 v[242:243], v[197:198], s[16:17], -v[236:237]
	v_add_f64 v[225:226], v[238:239], v[225:226]
	v_mul_f64 v[154:155], v[219:220], s[30:31]
	v_fma_f64 v[231:232], v[199:200], s[16:17], v[144:145]
	v_fma_f64 v[144:145], v[199:200], s[16:17], -v[144:145]
	v_fma_f64 v[229:230], v[181:182], s[2:3], v[229:230]
	v_add_f64 v[148:149], v[240:241], v[148:149]
	v_add_f64 v[146:147], v[152:153], v[146:147]
	v_fma_f64 v[152:153], v[207:208], s[24:25], -v[233:234]
	v_add_f64 v[225:226], v[242:243], v[225:226]
	v_fma_f64 v[238:239], v[209:210], s[24:25], v[154:155]
	v_add_f64 v[150:151], v[231:232], v[150:151]
	v_fma_f64 v[154:155], v[209:210], s[24:25], -v[154:155]
	v_mul_f64 v[231:232], v[195:196], s[46:47]
	v_add_f64 v[148:149], v[229:230], v[148:149]
	v_add_f64 v[229:230], v[144:145], v[146:147]
	v_fma_f64 v[223:224], v[187:188], s[42:43], v[223:224]
	v_add_f64 v[144:145], v[152:153], v[225:226]
	v_mul_f64 v[152:153], v[161:162], s[46:47]
	v_add_f64 v[146:147], v[238:239], v[150:151]
	v_mul_f64 v[238:239], v[205:206], s[8:9]
	v_fma_f64 v[225:226], v[159:160], s[42:43], v[231:232]
	v_fma_f64 v[236:237], v[197:198], s[16:17], v[236:237]
	v_add_f64 v[150:151], v[154:155], v[229:230]
	v_mul_f64 v[229:230], v[167:168], s[8:9]
	v_add_f64 v[148:149], v[223:224], v[148:149]
	v_fma_f64 v[240:241], v[157:158], s[42:43], -v[152:153]
	v_mul_f64 v[154:155], v[185:186], s[54:55]
	v_fma_f64 v[223:224], v[165:166], s[2:3], v[238:239]
	v_add_f64 v[225:226], v[86:87], v[225:226]
	v_mul_f64 v[244:245], v[173:174], s[54:55]
	v_mul_f64 v[252:253], v[179:180], s[44:45]
	v_fma_f64 v[246:247], v[163:164], s[2:3], -v[229:230]
	v_add_f64 v[148:149], v[236:237], v[148:149]
	v_add_f64 v[240:241], v[84:85], v[240:241]
	v_mul_f64 v[236:237], v[193:194], s[44:45]
	v_fma_f64 v[242:243], v[171:172], s[36:37], v[154:155]
	v_add_f64 v[223:224], v[223:224], v[225:226]
	v_mov_b32_e32 v142, v228
	v_fma_f64 v[227:228], v[169:170], s[36:37], -v[244:245]
	buffer_store_dword v0, off, s[64:67], 0 offset:148 ; 4-byte Folded Spill
	s_nop 0
	buffer_store_dword v1, off, s[64:67], 0 offset:152 ; 4-byte Folded Spill
	buffer_store_dword v2, off, s[64:67], 0 offset:156 ; 4-byte Folded Spill
	;; [unrolled: 1-line block ×3, first 2 shown]
	v_mul_f64 v[248:249], v[201:202], s[38:39]
	v_add_f64 v[240:241], v[246:247], v[240:241]
	v_fma_f64 v[250:251], v[177:178], s[16:17], v[236:237]
	v_fma_f64 v[231:232], v[159:160], s[42:43], -v[231:232]
	v_add_f64 v[223:224], v[242:243], v[223:224]
	v_mov_b32_e32 v140, v255
	v_mul_f64 v[254:255], v[191:192], s[38:39]
	v_fma_f64 v[0:1], v[175:176], s[16:17], -v[252:253]
	v_mul_f64 v[242:243], v[211:212], s[20:21]
	v_add_f64 v[227:228], v[227:228], v[240:241]
	v_fma_f64 v[246:247], v[183:184], s[34:35], v[248:249]
	v_fma_f64 v[2:3], v[165:166], s[2:3], -v[238:239]
	v_add_f64 v[231:232], v[86:87], v[231:232]
	v_add_f64 v[223:224], v[250:251], v[223:224]
	v_mul_f64 v[250:251], v[203:204], s[20:21]
	v_fma_f64 v[4:5], v[181:182], s[34:35], -v[254:255]
	v_mul_f64 v[238:239], v[215:216], s[58:59]
	v_add_f64 v[0:1], v[0:1], v[227:228]
	v_fma_f64 v[240:241], v[189:190], s[10:11], v[242:243]
	v_fma_f64 v[6:7], v[171:172], s[36:37], -v[154:155]
	v_add_f64 v[2:3], v[2:3], v[231:232]
	v_add_f64 v[154:155], v[246:247], v[223:224]
	v_mul_f64 v[227:228], v[213:214], s[58:59]
	v_fma_f64 v[231:232], v[187:188], s[10:11], -v[250:251]
	v_fma_f64 v[152:153], v[157:158], s[42:43], v[152:153]
	v_add_f64 v[0:1], v[4:5], v[0:1]
	v_mul_f64 v[225:226], v[219:220], s[56:57]
	v_fma_f64 v[223:224], v[199:200], s[24:25], v[238:239]
	v_fma_f64 v[236:237], v[177:178], s[16:17], -v[236:237]
	v_add_f64 v[2:3], v[6:7], v[2:3]
	v_add_f64 v[4:5], v[240:241], v[154:155]
	v_mul_f64 v[6:7], v[217:218], s[56:57]
	v_fma_f64 v[154:155], v[197:198], s[24:25], -v[227:228]
	v_fma_f64 v[229:230], v[163:164], s[2:3], v[229:230]
	v_add_f64 v[152:153], v[84:85], v[152:153]
	v_add_f64 v[0:1], v[231:232], v[0:1]
	v_fma_f64 v[233:234], v[207:208], s[24:25], v[233:234]
	v_fma_f64 v[240:241], v[183:184], s[34:35], -v[248:249]
	v_add_f64 v[2:3], v[236:237], v[2:3]
	v_fma_f64 v[231:232], v[209:210], s[22:23], v[225:226]
	v_add_f64 v[4:5], v[223:224], v[4:5]
	v_fma_f64 v[223:224], v[207:208], s[22:23], -v[6:7]
	v_fma_f64 v[236:237], v[189:190], s[10:11], -v[242:243]
	v_fma_f64 v[242:243], v[169:170], s[36:37], v[244:245]
	v_add_f64 v[152:153], v[229:230], v[152:153]
	v_add_f64 v[0:1], v[154:155], v[0:1]
	;; [unrolled: 1-line block ×5, first 2 shown]
	v_fma_f64 v[229:230], v[175:176], s[16:17], v[252:253]
	v_mul_f64 v[231:232], v[195:196], s[38:39]
	v_fma_f64 v[4:5], v[199:200], s[24:25], -v[238:239]
	v_add_f64 v[233:234], v[242:243], v[152:153]
	v_add_f64 v[152:153], v[223:224], v[0:1]
	v_mul_f64 v[223:224], v[161:162], s[38:39]
	v_add_f64 v[2:3], v[236:237], v[2:3]
	v_fma_f64 v[0:1], v[209:210], s[22:23], -v[225:226]
	v_fma_f64 v[225:226], v[181:182], s[34:35], v[254:255]
	v_mul_f64 v[236:237], v[205:206], s[30:31]
	v_fma_f64 v[238:239], v[159:160], s[34:35], v[231:232]
	v_add_f64 v[229:230], v[229:230], v[233:234]
	v_mul_f64 v[233:234], v[167:168], s[30:31]
	v_fma_f64 v[240:241], v[157:158], s[34:35], -v[223:224]
	v_add_f64 v[2:3], v[4:5], v[2:3]
	v_fma_f64 v[4:5], v[187:188], s[10:11], v[250:251]
	v_mul_f64 v[242:243], v[185:186], s[52:53]
	v_fma_f64 v[244:245], v[165:166], s[24:25], v[236:237]
	v_add_f64 v[238:239], v[86:87], v[238:239]
	v_add_f64 v[225:226], v[225:226], v[229:230]
	v_mul_f64 v[246:247], v[173:174], s[52:53]
	v_fma_f64 v[229:230], v[163:164], s[24:25], -v[233:234]
	v_add_f64 v[240:241], v[84:85], v[240:241]
	v_mul_f64 v[248:249], v[193:194], s[54:55]
	v_fma_f64 v[250:251], v[171:172], s[2:3], v[242:243]
	v_fma_f64 v[231:232], v[159:160], s[34:35], -v[231:232]
	v_add_f64 v[238:239], v[244:245], v[238:239]
	v_add_f64 v[4:5], v[4:5], v[225:226]
	v_mul_f64 v[225:226], v[179:180], s[54:55]
	v_fma_f64 v[244:245], v[169:170], s[2:3], -v[246:247]
	v_add_f64 v[229:230], v[229:230], v[240:241]
	v_mul_f64 v[240:241], v[201:202], s[56:57]
	v_fma_f64 v[252:253], v[177:178], s[36:37], v[248:249]
	v_mov_b32_e32 v131, v12
	v_add_f64 v[238:239], v[250:251], v[238:239]
	v_mul_f64 v[250:251], v[191:192], s[56:57]
	v_fma_f64 v[254:255], v[175:176], s[36:37], -v[225:226]
	v_fma_f64 v[236:237], v[165:166], s[24:25], -v[236:237]
	v_add_f64 v[229:230], v[244:245], v[229:230]
	v_add_f64 v[231:232], v[86:87], v[231:232]
	v_mul_f64 v[244:245], v[211:212], s[18:19]
	v_mov_b32_e32 v130, v11
	v_mov_b32_e32 v129, v10
	;; [unrolled: 1-line block ×3, first 2 shown]
	v_fma_f64 v[8:9], v[183:184], s[22:23], v[240:241]
	v_add_f64 v[10:11], v[252:253], v[238:239]
	v_mul_f64 v[252:253], v[203:204], s[18:19]
	v_fma_f64 v[238:239], v[181:182], s[22:23], -v[250:251]
	v_add_f64 v[229:230], v[254:255], v[229:230]
	v_mov_b32_e32 v135, v16
	v_fma_f64 v[242:243], v[171:172], s[2:3], -v[242:243]
	v_add_f64 v[231:232], v[236:237], v[231:232]
	v_fma_f64 v[254:255], v[189:190], s[16:17], v[244:245]
	v_add_f64 v[8:9], v[8:9], v[10:11]
	v_mul_f64 v[10:11], v[213:214], s[46:47]
	v_mov_b32_e32 v134, v15
	v_mov_b32_e32 v133, v14
	;; [unrolled: 1-line block ×3, first 2 shown]
	v_fma_f64 v[12:13], v[187:188], s[16:17], -v[252:253]
	v_add_f64 v[229:230], v[238:239], v[229:230]
	v_fma_f64 v[227:228], v[197:198], s[24:25], v[227:228]
	v_mul_f64 v[236:237], v[215:216], s[46:47]
	v_fma_f64 v[14:15], v[177:178], s[36:37], -v[248:249]
	v_add_f64 v[231:232], v[242:243], v[231:232]
	v_add_f64 v[8:9], v[254:255], v[8:9]
	v_mul_f64 v[248:249], v[217:218], s[20:21]
	v_fma_f64 v[254:255], v[197:198], s[42:43], -v[10:11]
	v_add_f64 v[12:13], v[12:13], v[229:230]
	v_mul_f64 v[242:243], v[219:220], s[20:21]
	v_fma_f64 v[238:239], v[199:200], s[42:43], v[236:237]
	v_fma_f64 v[240:241], v[183:184], s[22:23], -v[240:241]
	v_add_f64 v[14:15], v[14:15], v[231:232]
	v_fma_f64 v[6:7], v[207:208], s[22:23], v[6:7]
	v_add_f64 v[4:5], v[227:228], v[4:5]
	v_fma_f64 v[28:29], v[207:208], s[10:11], -v[248:249]
	v_add_f64 v[12:13], v[254:255], v[12:13]
	v_fma_f64 v[227:228], v[209:210], s[10:11], v[242:243]
	v_add_f64 v[8:9], v[238:239], v[8:9]
	v_fma_f64 v[30:31], v[189:190], s[16:17], -v[244:245]
	v_add_f64 v[14:15], v[240:241], v[14:15]
	v_add_f64 v[231:232], v[0:1], v[2:3]
	;; [unrolled: 1-line block ×3, first 2 shown]
	v_fma_f64 v[0:1], v[157:158], s[34:35], v[223:224]
	v_fma_f64 v[2:3], v[199:200], s[42:43], -v[236:237]
	v_mul_f64 v[4:5], v[195:196], s[28:29]
	v_add_f64 v[236:237], v[28:29], v[12:13]
	v_mul_f64 v[12:13], v[161:162], s[28:29]
	v_add_f64 v[238:239], v[227:228], v[8:9]
	v_add_f64 v[6:7], v[30:31], v[14:15]
	v_fma_f64 v[8:9], v[163:164], s[24:25], v[233:234]
	v_add_f64 v[0:1], v[84:85], v[0:1]
	v_mul_f64 v[28:29], v[205:206], s[46:47]
	v_fma_f64 v[30:31], v[159:160], s[22:23], v[4:5]
	v_mul_f64 v[223:224], v[167:168], s[46:47]
	v_fma_f64 v[227:228], v[157:158], s[22:23], -v[12:13]
	v_mul_f64 v[244:245], v[173:174], s[30:31]
	v_add_f64 v[2:3], v[2:3], v[6:7]
	v_fma_f64 v[6:7], v[169:170], s[2:3], v[246:247]
	v_add_f64 v[0:1], v[8:9], v[0:1]
	v_mul_f64 v[8:9], v[185:186], s[30:31]
	v_fma_f64 v[233:234], v[165:166], s[42:43], v[28:29]
	v_add_f64 v[30:31], v[86:87], v[30:31]
	v_fma_f64 v[240:241], v[163:164], s[42:43], -v[223:224]
	v_add_f64 v[227:228], v[84:85], v[227:228]
	v_fma_f64 v[14:15], v[209:210], s[10:11], -v[242:243]
	v_fma_f64 v[225:226], v[175:176], s[36:37], v[225:226]
	v_add_f64 v[0:1], v[6:7], v[0:1]
	v_mul_f64 v[6:7], v[193:194], s[8:9]
	v_fma_f64 v[242:243], v[171:172], s[24:25], v[8:9]
	v_add_f64 v[30:31], v[233:234], v[30:31]
	v_fma_f64 v[233:234], v[181:182], s[22:23], v[250:251]
	v_mul_f64 v[246:247], v[179:180], s[8:9]
	v_fma_f64 v[250:251], v[169:170], s[24:25], -v[244:245]
	v_add_f64 v[227:228], v[240:241], v[227:228]
	v_add_f64 v[0:1], v[225:226], v[0:1]
	v_mul_f64 v[225:226], v[201:202], s[48:49]
	v_fma_f64 v[240:241], v[177:178], s[2:3], v[6:7]
	v_add_f64 v[30:31], v[242:243], v[30:31]
	v_fma_f64 v[242:243], v[187:188], s[16:17], v[252:253]
	v_mul_f64 v[252:253], v[191:192], s[48:49]
	v_fma_f64 v[254:255], v[175:176], s[2:3], -v[246:247]
	v_add_f64 v[227:228], v[250:251], v[227:228]
	v_mov_b32_e32 v139, v20
	v_add_f64 v[0:1], v[233:234], v[0:1]
	v_mul_f64 v[233:234], v[211:212], s[54:55]
	v_fma_f64 v[250:251], v[183:184], s[10:11], v[225:226]
	v_add_f64 v[30:31], v[240:241], v[30:31]
	v_mov_b32_e32 v138, v19
	v_mov_b32_e32 v137, v18
	;; [unrolled: 1-line block ×3, first 2 shown]
	v_mul_f64 v[16:17], v[203:204], s[54:55]
	v_fma_f64 v[18:19], v[181:182], s[10:11], -v[252:253]
	v_add_f64 v[227:228], v[254:255], v[227:228]
	v_add_f64 v[0:1], v[242:243], v[0:1]
	v_mul_f64 v[254:255], v[215:216], s[50:51]
	v_fma_f64 v[240:241], v[189:190], s[36:37], v[233:234]
	v_add_f64 v[30:31], v[250:251], v[30:31]
	v_fma_f64 v[4:5], v[159:160], s[22:23], -v[4:5]
	v_fma_f64 v[242:243], v[187:188], s[36:37], -v[16:17]
	v_fma_f64 v[12:13], v[157:158], s[22:23], v[12:13]
	v_add_f64 v[18:19], v[18:19], v[227:228]
	v_fma_f64 v[8:9], v[171:172], s[24:25], -v[8:9]
	v_fma_f64 v[227:228], v[199:200], s[34:35], v[254:255]
	v_fma_f64 v[223:224], v[163:164], s[42:43], v[223:224]
	v_add_f64 v[30:31], v[240:241], v[30:31]
	v_add_f64 v[4:5], v[86:87], v[4:5]
	v_fma_f64 v[6:7], v[177:178], s[2:3], -v[6:7]
	v_add_f64 v[12:13], v[84:85], v[12:13]
	v_add_f64 v[18:19], v[242:243], v[18:19]
	;; [unrolled: 1-line block ×3, first 2 shown]
	v_fma_f64 v[2:3], v[165:166], s[42:43], -v[28:29]
	v_mul_f64 v[205:206], v[205:206], s[28:29]
	v_add_f64 v[14:15], v[227:228], v[30:31]
	v_mul_f64 v[30:31], v[195:196], s[18:19]
	v_fma_f64 v[195:196], v[183:184], s[10:11], -v[225:226]
	v_add_f64 v[90:91], v[86:87], v[90:91]
	v_add_f64 v[88:89], v[84:85], v[88:89]
	v_mul_f64 v[250:251], v[213:214], s[50:51]
	v_add_f64 v[2:3], v[2:3], v[4:5]
	v_add_f64 v[12:13], v[223:224], v[12:13]
	v_mul_f64 v[185:186], v[185:186], s[38:39]
	v_fma_f64 v[225:226], v[159:160], s[16:17], v[30:31]
	v_fma_f64 v[223:224], v[165:166], s[22:23], v[205:206]
	v_add_f64 v[90:91], v[90:91], v[94:95]
	v_add_f64 v[88:89], v[88:89], v[92:93]
	v_fma_f64 v[10:11], v[197:198], s[42:43], v[10:11]
	v_add_f64 v[2:3], v[8:9], v[2:3]
	v_fma_f64 v[8:9], v[169:170], s[24:25], v[244:245]
	v_fma_f64 v[22:23], v[197:198], s[34:35], -v[250:251]
	v_add_f64 v[225:226], v[86:87], v[225:226]
	v_fma_f64 v[4:5], v[189:190], s[36:37], -v[233:234]
	v_fma_f64 v[92:93], v[171:172], s[34:35], v[185:186]
	v_add_f64 v[90:91], v[90:91], v[102:103]
	v_add_f64 v[88:89], v[88:89], v[100:101]
	v_add_f64 v[2:3], v[6:7], v[2:3]
	v_fma_f64 v[6:7], v[175:176], s[2:3], v[246:247]
	v_add_f64 v[8:9], v[8:9], v[12:13]
	v_mul_f64 v[12:13], v[193:194], s[46:47]
	v_add_f64 v[94:95], v[223:224], v[225:226]
	v_fma_f64 v[248:249], v[207:208], s[10:11], v[248:249]
	v_add_f64 v[0:1], v[10:11], v[0:1]
	v_mul_f64 v[10:11], v[219:220], s[44:45]
	v_add_f64 v[2:3], v[195:196], v[2:3]
	v_add_f64 v[18:19], v[22:23], v[18:19]
	v_fma_f64 v[22:23], v[199:200], s[34:35], -v[254:255]
	v_add_f64 v[6:7], v[6:7], v[8:9]
	v_mul_f64 v[8:9], v[201:202], s[40:41]
	v_fma_f64 v[100:101], v[177:178], s[42:43], v[12:13]
	v_add_f64 v[92:93], v[92:93], v[94:95]
	v_add_f64 v[88:89], v[88:89], v[104:105]
	;; [unrolled: 1-line block ×3, first 2 shown]
	v_fma_f64 v[4:5], v[187:188], s[36:37], v[16:17]
	v_add_f64 v[16:17], v[90:91], v[106:107]
	v_add_f64 v[240:241], v[248:249], v[0:1]
	v_fma_f64 v[0:1], v[209:210], s[16:17], v[10:11]
	v_fma_f64 v[10:11], v[209:210], s[16:17], -v[10:11]
	v_mul_f64 v[90:91], v[211:212], s[30:31]
	v_fma_f64 v[94:95], v[183:184], s[36:37], v[8:9]
	v_add_f64 v[92:93], v[100:101], v[92:93]
	v_add_f64 v[2:3], v[22:23], v[2:3]
	;; [unrolled: 1-line block ×4, first 2 shown]
	v_fma_f64 v[30:31], v[159:160], s[16:17], -v[30:31]
	buffer_load_dword v224, off, s[64:67], 0 offset:28 ; 4-byte Folded Reload
	buffer_load_dword v225, off, s[64:67], 0 offset:32 ; 4-byte Folded Reload
	;; [unrolled: 1-line block ×5, first 2 shown]
	v_fma_f64 v[102:103], v[189:190], s[24:25], v[90:91]
	v_fma_f64 v[112:113], v[165:166], s[22:23], -v[205:206]
	v_add_f64 v[92:93], v[94:95], v[92:93]
	v_add_f64 v[88:89], v[10:11], v[2:3]
	;; [unrolled: 1-line block ×4, first 2 shown]
	v_mul_f64 v[110:111], v[167:168], s[28:29]
	v_add_f64 v[30:31], v[86:87], v[30:31]
	v_mul_f64 v[108:109], v[179:180], s[46:47]
	v_mul_f64 v[106:107], v[191:192], s[40:41]
	v_add_f64 v[92:93], v[102:103], v[92:93]
	v_mul_f64 v[102:103], v[161:162], s[18:19]
	v_add_f64 v[2:3], v[2:3], v[118:119]
	v_add_f64 v[16:17], v[16:17], v[116:117]
	v_fma_f64 v[86:87], v[163:164], s[22:23], v[110:111]
	v_add_f64 v[30:31], v[112:113], v[30:31]
	v_fma_f64 v[12:13], v[177:178], s[42:43], -v[12:13]
	v_fma_f64 v[193:194], v[181:182], s[10:11], v[252:253]
	v_mul_f64 v[104:105], v[203:204], s[30:31]
	v_fma_f64 v[8:9], v[183:184], s[36:37], -v[8:9]
	v_add_f64 v[2:3], v[2:3], v[98:99]
	v_add_f64 v[16:17], v[16:17], v[96:97]
	v_fma_f64 v[96:97], v[157:158], s[16:17], v[102:103]
	v_fma_f64 v[102:103], v[157:158], s[16:17], -v[102:103]
	v_mul_f64 v[98:99], v[173:174], s[38:39]
	v_add_f64 v[6:7], v[193:194], v[6:7]
	v_mul_f64 v[100:101], v[213:214], s[20:21]
	v_mov_b32_e32 v141, v21
	v_add_f64 v[2:3], v[2:3], v[82:83]
	v_add_f64 v[16:17], v[16:17], v[80:81]
	v_add_f64 v[80:81], v[84:85], v[96:97]
	v_fma_f64 v[82:83], v[163:164], s[22:23], -v[110:111]
	v_add_f64 v[84:85], v[84:85], v[102:103]
	v_fma_f64 v[96:97], v[171:172], s[34:35], -v[185:186]
	v_fma_f64 v[102:103], v[169:170], s[34:35], v[98:99]
	v_mul_f64 v[20:21], v[217:218], s[44:45]
	v_add_f64 v[2:3], v[2:3], v[26:27]
	v_add_f64 v[16:17], v[16:17], v[24:25]
	;; [unrolled: 1-line block ×3, first 2 shown]
	v_fma_f64 v[26:27], v[169:170], s[34:35], -v[98:99]
	v_add_f64 v[80:81], v[82:83], v[84:85]
	buffer_load_dword v84, off, s[64:67], 0 ; 4-byte Folded Reload
	buffer_load_dword v85, off, s[64:67], 0 offset:4 ; 4-byte Folded Reload
	buffer_load_dword v86, off, s[64:67], 0 offset:8 ; 4-byte Folded Reload
	;; [unrolled: 1-line block ×3, first 2 shown]
	v_add_f64 v[30:31], v[96:97], v[30:31]
	buffer_load_dword v96, off, s[64:67], 0 offset:132 ; 4-byte Folded Reload
	buffer_load_dword v97, off, s[64:67], 0 offset:136 ; 4-byte Folded Reload
	;; [unrolled: 1-line block ×4, first 2 shown]
	v_fma_f64 v[82:83], v[175:176], s[42:43], v[108:109]
	v_fma_f64 v[22:23], v[197:198], s[34:35], v[250:251]
	v_add_f64 v[24:25], v[102:103], v[24:25]
	v_add_f64 v[4:5], v[4:5], v[6:7]
	;; [unrolled: 1-line block ×3, first 2 shown]
	v_fma_f64 v[80:81], v[181:182], s[36:37], -v[106:107]
	v_add_f64 v[12:13], v[12:13], v[30:31]
	v_fma_f64 v[30:31], v[181:182], s[36:37], v[106:107]
	v_mul_f64 v[6:7], v[215:216], s[20:21]
	v_mul_f64 v[94:95], v[217:218], s[8:9]
	v_add_f64 v[24:25], v[82:83], v[24:25]
	v_fma_f64 v[82:83], v[189:190], s[24:25], -v[90:91]
	v_fma_f64 v[28:29], v[207:208], s[16:17], -v[20:21]
	v_fma_f64 v[10:11], v[207:208], s[16:17], v[20:21]
	v_add_f64 v[8:9], v[8:9], v[12:13]
	v_fma_f64 v[12:13], v[187:188], s[24:25], v[104:105]
	v_add_f64 v[20:21], v[22:23], v[4:5]
	;; [unrolled: 2-line block ×3, first 2 shown]
	v_fma_f64 v[6:7], v[199:200], s[10:11], -v[6:7]
	v_mul_f64 v[4:5], v[219:220], s[8:9]
	v_fma_f64 v[30:31], v[187:188], s[24:25], -v[104:105]
	v_add_f64 v[8:9], v[82:83], v[8:9]
	v_fma_f64 v[82:83], v[207:208], s[2:3], v[94:95]
	v_mov_b32_e32 v228, v142
	v_add_f64 v[22:23], v[22:23], v[92:93]
	v_add_f64 v[12:13], v[12:13], v[24:25]
	v_fma_f64 v[24:25], v[197:198], s[10:11], -v[100:101]
	v_mov_b32_e32 v255, v140
	v_add_f64 v[6:7], v[6:7], v[8:9]
	s_waitcnt vmcnt(6)
	v_add_f64 v[16:17], v[16:17], v[84:85]
	v_fma_f64 v[84:85], v[175:176], s[42:43], -v[108:109]
	s_waitcnt vmcnt(4)
	v_add_f64 v[2:3], v[2:3], v[86:87]
	s_waitcnt vmcnt(2)
	v_add_f64 v[16:17], v[16:17], v[96:97]
	v_add_f64 v[26:27], v[84:85], v[26:27]
	buffer_load_dword v84, off, s[64:67], 0 offset:84 ; 4-byte Folded Reload
	buffer_load_dword v85, off, s[64:67], 0 offset:88 ; 4-byte Folded Reload
	;; [unrolled: 1-line block ×4, first 2 shown]
	s_waitcnt vmcnt(4)
	v_add_f64 v[2:3], v[2:3], v[98:99]
	v_add_f64 v[26:27], v[80:81], v[26:27]
	v_fma_f64 v[80:81], v[197:198], s[10:11], v[100:101]
	v_add_f64 v[26:27], v[30:31], v[26:27]
	v_add_f64 v[12:13], v[80:81], v[12:13]
	v_fma_f64 v[30:31], v[209:210], s[2:3], -v[4:5]
	v_fma_f64 v[80:81], v[209:210], s[2:3], v[4:5]
	v_add_f64 v[24:25], v[24:25], v[26:27]
	v_add_f64 v[4:5], v[30:31], v[6:7]
	s_waitcnt vmcnt(0)
	v_add_f64 v[2:3], v[2:3], v[86:87]
	v_add_f64 v[16:17], v[16:17], v[84:85]
	;; [unrolled: 1-line block ×3, first 2 shown]
	v_fma_f64 v[84:85], v[207:208], s[2:3], -v[94:95]
	v_add_f64 v[10:11], v[28:29], v[18:19]
	v_add_f64 v[2:3], v[2:3], v[138:139]
	;; [unrolled: 1-line block ×8, first 2 shown]
	buffer_load_dword v0, off, s[64:67], 0 offset:16 ; 4-byte Folded Reload
	v_add_f64 v[6:7], v[16:17], v[128:129]
	v_add_f64 v[16:17], v[80:81], v[22:23]
	;; [unrolled: 1-line block ×3, first 2 shown]
	s_waitcnt vmcnt(0)
	v_lshl_add_u32 v0, v141, 4, v0
	ds_write_b128 v0, v[6:9]
	ds_write_b128 v0, v[2:5] offset:16
	ds_write_b128 v0, v[86:89] offset:32
	;; [unrolled: 1-line block ×4, first 2 shown]
	buffer_load_dword v231, off, s[64:67], 0 offset:60 ; 4-byte Folded Reload
	buffer_load_dword v230, off, s[64:67], 0 offset:52 ; 4-byte Folded Reload
	;; [unrolled: 1-line block ×3, first 2 shown]
	ds_write_b128 v0, v[148:151] offset:80
	buffer_load_dword v1, off, s[64:67], 0 offset:148 ; 4-byte Folded Reload
	buffer_load_dword v2, off, s[64:67], 0 offset:152 ; 4-byte Folded Reload
	;; [unrolled: 1-line block ×4, first 2 shown]
	s_waitcnt vmcnt(0)
	ds_write_b128 v0, v[1:4] offset:96
	buffer_load_dword v1, off, s[64:67], 0 offset:116 ; 4-byte Folded Reload
	buffer_load_dword v2, off, s[64:67], 0 offset:120 ; 4-byte Folded Reload
	buffer_load_dword v3, off, s[64:67], 0 offset:124 ; 4-byte Folded Reload
	buffer_load_dword v4, off, s[64:67], 0 offset:128 ; 4-byte Folded Reload
	s_waitcnt vmcnt(0)
	ds_write_b128 v0, v[1:4] offset:112
	ds_write_b128 v0, v[120:123] offset:128
	;; [unrolled: 1-line block ×3, first 2 shown]
	buffer_load_dword v1, off, s[64:67], 0 offset:68 ; 4-byte Folded Reload
	buffer_load_dword v2, off, s[64:67], 0 offset:72 ; 4-byte Folded Reload
	;; [unrolled: 1-line block ×4, first 2 shown]
	s_waitcnt vmcnt(0)
	ds_write_b128 v0, v[1:4] offset:160
	buffer_load_dword v1, off, s[64:67], 0 offset:100 ; 4-byte Folded Reload
	buffer_load_dword v2, off, s[64:67], 0 offset:104 ; 4-byte Folded Reload
	buffer_load_dword v3, off, s[64:67], 0 offset:108 ; 4-byte Folded Reload
	buffer_load_dword v4, off, s[64:67], 0 offset:112 ; 4-byte Folded Reload
	s_waitcnt vmcnt(0)
	ds_write_b128 v0, v[1:4] offset:176
	ds_write_b128 v0, v[144:147] offset:192
	;; [unrolled: 1-line block ×6, first 2 shown]
.LBB0_17:
	s_or_b64 exec, exec, s[26:27]
	s_waitcnt lgkmcnt(0)
	s_barrier
	ds_read_b128 v[4:7], v222
	ds_read_b128 v[8:11], v222 offset:544
	ds_read_b128 v[20:23], v222 offset:2448
	;; [unrolled: 1-line block ×7, first 2 shown]
	s_and_saveexec_b64 s[2:3], s[0:1]
	s_cbranch_execz .LBB0_19
; %bb.18:
	ds_read_b128 v[120:123], v222 offset:2176
	ds_read_b128 v[124:127], v222 offset:4624
.LBB0_19:
	s_or_b64 exec, exec, s[2:3]
	s_waitcnt lgkmcnt(5)
	v_mul_f64 v[28:29], v[38:39], v[22:23]
	v_mul_f64 v[30:31], v[38:39], v[20:21]
	s_waitcnt lgkmcnt(4)
	v_mul_f64 v[38:39], v[34:35], v[18:19]
	v_mul_f64 v[34:35], v[34:35], v[16:17]
	;; [unrolled: 3-line block ×4, first 2 shown]
	v_fma_f64 v[20:21], v[36:37], v[20:21], v[28:29]
	v_fma_f64 v[22:23], v[36:37], v[22:23], -v[30:31]
	v_fma_f64 v[28:29], v[32:33], v[16:17], v[38:39]
	v_fma_f64 v[30:31], v[32:33], v[18:19], -v[34:35]
	;; [unrolled: 2-line block ×4, first 2 shown]
	v_add_f64 v[16:17], v[4:5], -v[20:21]
	v_add_f64 v[18:19], v[6:7], -v[22:23]
	;; [unrolled: 1-line block ×8, first 2 shown]
	v_fma_f64 v[4:5], v[4:5], 2.0, -v[16:17]
	v_fma_f64 v[6:7], v[6:7], 2.0, -v[18:19]
	;; [unrolled: 1-line block ×8, first 2 shown]
	s_barrier
	ds_write_b128 v230, v[4:7]
	ds_write_b128 v230, v[16:19] offset:272
	ds_write_b128 v231, v[8:11]
	ds_write_b128 v231, v[20:23] offset:272
	ds_write_b128 v229, v[12:15]
	ds_write_b128 v229, v[24:27] offset:272
	ds_write_b128 v228, v[0:3]
	ds_write_b128 v228, v[32:35] offset:272
	s_and_saveexec_b64 s[2:3], s[0:1]
	s_cbranch_execz .LBB0_21
; %bb.20:
	buffer_load_dword v9, off, s[64:67], 0 offset:16 ; 4-byte Folded Reload
	v_mul_f64 v[0:1], v[226:227], v[124:125]
	v_mul_f64 v[2:3], v[226:227], v[126:127]
	v_and_b32_e32 v8, 0xff, v223
	v_fma_f64 v[0:1], v[224:225], v[126:127], -v[0:1]
	v_fma_f64 v[4:5], v[224:225], v[124:125], v[2:3]
	v_add_f64 v[2:3], v[122:123], -v[0:1]
	v_add_f64 v[0:1], v[120:121], -v[4:5]
	v_fma_f64 v[6:7], v[122:123], 2.0, -v[2:3]
	v_fma_f64 v[4:5], v[120:121], 2.0, -v[0:1]
	s_waitcnt vmcnt(0)
	v_lshl_add_u32 v8, v8, 4, v9
	ds_write_b128 v8, v[4:7] offset:4352
	ds_write_b128 v8, v[0:3] offset:4624
.LBB0_21:
	s_or_b64 exec, exec, s[2:3]
	s_waitcnt lgkmcnt(0)
	s_barrier
	ds_read_b128 v[0:3], v222
	ds_read_b128 v[4:7], v222 offset:544
	ds_read_b128 v[8:11], v222 offset:1088
	;; [unrolled: 1-line block ×5, first 2 shown]
	s_waitcnt lgkmcnt(4)
	v_mul_f64 v[38:39], v[62:63], v[4:5]
	s_waitcnt lgkmcnt(3)
	v_mul_f64 v[42:43], v[58:59], v[8:9]
	ds_read_b128 v[24:27], v222 offset:3264
	ds_read_b128 v[28:31], v222 offset:3808
	;; [unrolled: 1-line block ×3, first 2 shown]
	v_mul_f64 v[36:37], v[62:63], v[6:7]
	v_mul_f64 v[40:41], v[58:59], v[10:11]
	s_waitcnt lgkmcnt(5)
	v_mul_f64 v[46:47], v[54:55], v[12:13]
	v_mul_f64 v[44:45], v[54:55], v[14:15]
	s_mov_b32 s3, 0x3fe491b7
	v_fma_f64 v[6:7], v[60:61], v[6:7], -v[38:39]
	s_waitcnt lgkmcnt(4)
	v_mul_f64 v[38:39], v[50:51], v[16:17]
	v_fma_f64 v[10:11], v[56:57], v[10:11], -v[42:43]
	s_waitcnt lgkmcnt(0)
	v_mul_f64 v[42:43], v[78:79], v[32:33]
	v_fma_f64 v[4:5], v[60:61], v[4:5], v[36:37]
	v_mul_f64 v[36:37], v[50:51], v[18:19]
	v_fma_f64 v[8:9], v[56:57], v[8:9], v[40:41]
	v_mul_f64 v[40:41], v[78:79], v[34:35]
	v_fma_f64 v[14:15], v[52:53], v[14:15], -v[46:47]
	v_fma_f64 v[18:19], v[48:49], v[18:19], -v[38:39]
	v_mul_f64 v[38:39], v[74:75], v[28:29]
	v_fma_f64 v[34:35], v[76:77], v[34:35], -v[42:43]
	v_mul_f64 v[46:47], v[70:71], v[20:21]
	v_fma_f64 v[16:17], v[48:49], v[16:17], v[36:37]
	v_mul_f64 v[36:37], v[74:75], v[30:31]
	v_fma_f64 v[32:33], v[76:77], v[32:33], v[40:41]
	v_mul_f64 v[42:43], v[66:67], v[24:25]
	s_mov_b32 s2, 0x523c161c
	v_fma_f64 v[30:31], v[72:73], v[30:31], -v[38:39]
	v_add_f64 v[38:39], v[6:7], -v[34:35]
	v_fma_f64 v[12:13], v[52:53], v[12:13], v[44:45]
	v_mul_f64 v[44:45], v[70:71], v[22:23]
	v_mul_f64 v[40:41], v[66:67], v[26:27]
	v_fma_f64 v[28:29], v[72:73], v[28:29], v[36:37]
	v_fma_f64 v[22:23], v[68:69], v[22:23], -v[46:47]
	v_add_f64 v[36:37], v[4:5], -v[32:33]
	v_fma_f64 v[26:27], v[64:65], v[26:27], -v[42:43]
	v_add_f64 v[42:43], v[10:11], -v[30:31]
	v_mul_f64 v[46:47], v[38:39], s[2:3]
	v_add_f64 v[32:33], v[4:5], v[32:33]
	s_mov_b32 s8, 0x8c811c17
	s_mov_b32 s10, 0xa2cf5039
	;; [unrolled: 1-line block ×4, first 2 shown]
	v_fma_f64 v[20:21], v[68:69], v[20:21], v[44:45]
	v_fma_f64 v[24:25], v[64:65], v[24:25], v[40:41]
	v_add_f64 v[40:41], v[8:9], -v[28:29]
	v_mul_f64 v[44:45], v[36:37], s[2:3]
	v_add_f64 v[34:35], v[6:7], v[34:35]
	v_add_f64 v[50:51], v[14:15], -v[26:27]
	v_fma_f64 v[6:7], v[42:43], s[8:9], v[46:47]
	v_add_f64 v[28:29], v[8:9], v[28:29]
	v_fma_f64 v[8:9], v[32:33], s[10:11], v[0:1]
	s_mov_b32 s0, 0xe8584cab
	s_mov_b32 s16, 0x7e0b738b
	;; [unrolled: 1-line block ×4, first 2 shown]
	v_add_f64 v[48:49], v[12:13], -v[24:25]
	v_fma_f64 v[4:5], v[40:41], s[8:9], v[44:45]
	v_add_f64 v[10:11], v[10:11], v[30:31]
	v_add_f64 v[24:25], v[12:13], v[24:25]
	v_fma_f64 v[6:7], v[50:51], s[0:1], v[6:7]
	v_fma_f64 v[12:13], v[34:35], s[10:11], v[2:3]
	v_add_f64 v[30:31], v[16:17], -v[20:21]
	v_add_f64 v[44:45], v[18:19], -v[22:23]
	v_add_f64 v[46:47], v[16:17], v[20:21]
	v_add_f64 v[52:53], v[18:19], v[22:23]
	v_fma_f64 v[8:9], v[28:29], s[16:17], v[8:9]
	s_mov_b32 s18, 0x748a0bf8
	s_mov_b32 s3, 0xbfe491b7
	;; [unrolled: 1-line block ×3, first 2 shown]
	v_add_f64 v[26:27], v[14:15], v[26:27]
	v_fma_f64 v[12:13], v[10:11], s[16:17], v[12:13]
	v_mul_f64 v[14:15], v[30:31], s[2:3]
	v_mul_f64 v[54:55], v[44:45], s[2:3]
	v_fma_f64 v[56:57], v[46:47], s[10:11], v[0:1]
	v_fma_f64 v[58:59], v[52:53], s[10:11], v[2:3]
	;; [unrolled: 1-line block ×3, first 2 shown]
	v_fma_f64 v[6:7], v[24:25], -0.5, v[8:9]
	s_mov_b32 s22, 0x42522d1b
	s_mov_b32 s23, 0xbfee11f6
	v_fma_f64 v[4:5], v[48:49], s[0:1], v[4:5]
	v_fma_f64 v[8:9], v[26:27], -0.5, v[12:13]
	v_fma_f64 v[12:13], v[36:37], s[8:9], v[14:15]
	v_fma_f64 v[14:15], v[38:39], s[8:9], v[54:55]
	;; [unrolled: 1-line block ×5, first 2 shown]
	s_mov_b32 s21, 0xbfebb67a
	s_mov_b32 s20, s0
	v_fma_f64 v[58:59], v[30:31], s[18:19], v[4:5]
	v_fma_f64 v[12:13], v[48:49], s[20:21], v[12:13]
	;; [unrolled: 1-line block ×3, first 2 shown]
	v_fma_f64 v[54:55], v[24:25], -0.5, v[54:55]
	v_fma_f64 v[56:57], v[26:27], -0.5, v[56:57]
	v_fma_f64 v[8:9], v[52:53], s[22:23], v[8:9]
	v_add_f64 v[4:5], v[6:7], -v[60:61]
	v_fma_f64 v[66:67], v[10:11], s[10:11], v[2:3]
	v_add_f64 v[68:69], v[0:1], v[24:25]
	v_fma_f64 v[62:63], v[40:41], s[18:19], v[12:13]
	v_fma_f64 v[64:65], v[42:43], s[18:19], v[14:15]
	;; [unrolled: 1-line block ×4, first 2 shown]
	v_add_f64 v[54:55], v[30:31], v[36:37]
	v_add_f64 v[6:7], v[58:59], v[8:9]
	v_fma_f64 v[8:9], v[60:61], 2.0, v[4:5]
	v_add_f64 v[56:57], v[44:45], v[38:39]
	v_mul_f64 v[30:31], v[30:31], s[8:9]
	v_mul_f64 v[44:45], v[44:45], s[8:9]
	v_fma_f64 v[60:61], v[28:29], s[10:11], v[0:1]
	v_add_f64 v[28:29], v[28:29], v[32:33]
	v_add_f64 v[10:11], v[10:11], v[34:35]
	v_add_f64 v[54:55], v[54:55], -v[40:41]
	v_add_f64 v[12:13], v[12:13], -v[64:65]
	;; [unrolled: 1-line block ×3, first 2 shown]
	v_fma_f64 v[30:31], v[40:41], s[2:3], -v[30:31]
	v_fma_f64 v[40:41], v[42:43], s[2:3], -v[44:45]
	v_fma_f64 v[42:43], v[46:47], s[16:17], v[60:61]
	v_fma_f64 v[44:45], v[52:53], s[16:17], v[66:67]
	v_add_f64 v[66:67], v[24:25], v[28:29]
	v_add_f64 v[70:71], v[26:27], v[10:11]
	;; [unrolled: 1-line block ×4, first 2 shown]
	v_fma_f64 v[30:31], v[48:49], s[0:1], v[30:31]
	v_fma_f64 v[40:41], v[50:51], s[0:1], v[40:41]
	v_fma_f64 v[24:25], v[24:25], -0.5, v[42:43]
	v_fma_f64 v[26:27], v[26:27], -0.5, v[44:45]
	v_add_f64 v[10:11], v[52:53], v[10:11]
	v_add_f64 v[16:17], v[16:17], v[66:67]
	;; [unrolled: 1-line block ×3, first 2 shown]
	v_fma_f64 v[28:29], v[28:29], -0.5, v[68:69]
	v_fma_f64 v[30:31], v[36:37], s[18:19], v[30:31]
	v_fma_f64 v[36:37], v[38:39], s[18:19], v[40:41]
	;; [unrolled: 1-line block ×4, first 2 shown]
	v_fma_f64 v[10:11], v[10:11], -0.5, v[60:61]
	v_add_f64 v[32:33], v[20:21], v[16:17]
	v_add_f64 v[34:35], v[22:23], v[18:19]
	v_mul_f64 v[38:39], v[54:55], s[0:1]
	v_mul_f64 v[40:41], v[56:57], s[0:1]
	v_fma_f64 v[16:17], v[56:57], s[20:21], v[28:29]
	v_add_f64 v[20:21], v[24:25], -v[36:37]
	v_add_f64 v[22:23], v[30:31], v[26:27]
	v_fma_f64 v[18:19], v[54:55], s[0:1], v[10:11]
	v_add_f64 v[14:15], v[62:63], v[14:15]
	v_add_f64 v[0:1], v[0:1], v[32:33]
	;; [unrolled: 1-line block ×3, first 2 shown]
	v_fma_f64 v[24:25], v[64:65], 2.0, v[12:13]
	v_fma_f64 v[28:29], v[40:41], 2.0, v[16:17]
	;; [unrolled: 1-line block ×3, first 2 shown]
	v_fma_f64 v[34:35], v[30:31], -2.0, v[22:23]
	v_fma_f64 v[30:31], v[38:39], -2.0, v[18:19]
	;; [unrolled: 1-line block ×4, first 2 shown]
	ds_write_b128 v221, v[0:3]
	ds_write_b128 v221, v[4:7] offset:544
	ds_write_b128 v221, v[12:15] offset:1088
	;; [unrolled: 1-line block ×8, first 2 shown]
	s_waitcnt lgkmcnt(0)
	s_barrier
	s_and_b64 exec, exec, vcc
	s_cbranch_execz .LBB0_23
; %bb.22:
	global_load_dwordx4 v[0:3], v235, s[12:13]
	ds_read_b128 v[4:7], v221
	ds_read_b128 v[8:11], v221 offset:288
	v_mad_u64_u32 v[12:13], s[0:1], s6, v156, 0
	v_mad_u64_u32 v[14:15], s[0:1], s4, v255, 0
	s_mul_i32 s3, s5, 0x120
	s_mul_hi_u32 s6, s4, 0x120
	v_mad_u64_u32 v[18:19], s[0:1], s7, v156, v[13:14]
	s_mul_i32 s2, s4, 0x120
	s_add_i32 s3, s6, s3
	v_mov_b32_e32 v13, v18
	v_mov_b32_e32 v18, s13
	s_movk_i32 s6, 0x1000
	s_waitcnt vmcnt(0) lgkmcnt(1)
	v_mul_f64 v[16:17], v[6:7], v[2:3]
	v_mul_f64 v[2:3], v[4:5], v[2:3]
	v_fma_f64 v[4:5], v[4:5], v[0:1], v[16:17]
	v_fma_f64 v[0:1], v[0:1], v[6:7], -v[2:3]
	v_mad_u64_u32 v[19:20], s[0:1], s5, v255, v[15:16]
	s_mov_b32 s0, 0x1ac5701b
	s_mov_b32 s1, 0x3f6ac570
	v_lshlrev_b64 v[6:7], 4, v[12:13]
	v_mov_b32_e32 v15, v19
	v_mul_f64 v[2:3], v[4:5], s[0:1]
	v_mul_f64 v[4:5], v[0:1], s[0:1]
	v_mov_b32_e32 v16, s15
	v_lshlrev_b64 v[12:13], 4, v[14:15]
	v_add_co_u32_e32 v0, vcc, s14, v6
	v_addc_co_u32_e32 v1, vcc, v16, v7, vcc
	v_add_co_u32_e32 v6, vcc, v0, v12
	v_addc_co_u32_e32 v7, vcc, v1, v13, vcc
	global_store_dwordx4 v[6:7], v[2:5], off
	global_load_dwordx4 v[2:5], v235, s[12:13] offset:288
	v_add_co_u32_e32 v14, vcc, s2, v6
	s_waitcnt vmcnt(0) lgkmcnt(0)
	v_mul_f64 v[12:13], v[10:11], v[4:5]
	v_mul_f64 v[4:5], v[8:9], v[4:5]
	v_fma_f64 v[8:9], v[8:9], v[2:3], v[12:13]
	v_fma_f64 v[4:5], v[2:3], v[10:11], -v[4:5]
	v_mul_f64 v[2:3], v[8:9], s[0:1]
	v_mul_f64 v[4:5], v[4:5], s[0:1]
	v_mov_b32_e32 v8, s3
	v_addc_co_u32_e32 v15, vcc, v7, v8, vcc
	global_store_dwordx4 v[14:15], v[2:5], off
	global_load_dwordx4 v[2:5], v235, s[12:13] offset:576
	ds_read_b128 v[6:9], v221 offset:576
	ds_read_b128 v[10:13], v221 offset:864
	s_waitcnt vmcnt(0) lgkmcnt(1)
	v_mul_f64 v[16:17], v[8:9], v[4:5]
	v_mul_f64 v[4:5], v[6:7], v[4:5]
	v_fma_f64 v[6:7], v[6:7], v[2:3], v[16:17]
	v_fma_f64 v[4:5], v[2:3], v[8:9], -v[4:5]
	v_mul_f64 v[2:3], v[6:7], s[0:1]
	v_mul_f64 v[4:5], v[4:5], s[0:1]
	v_mov_b32_e32 v7, s3
	v_add_co_u32_e32 v6, vcc, s2, v14
	v_addc_co_u32_e32 v7, vcc, v15, v7, vcc
	v_add_co_u32_e32 v14, vcc, s2, v6
	global_store_dwordx4 v[6:7], v[2:5], off
	global_load_dwordx4 v[2:5], v235, s[12:13] offset:864
	s_waitcnt vmcnt(0) lgkmcnt(0)
	v_mul_f64 v[8:9], v[12:13], v[4:5]
	v_mul_f64 v[4:5], v[10:11], v[4:5]
	v_fma_f64 v[8:9], v[10:11], v[2:3], v[8:9]
	v_fma_f64 v[4:5], v[2:3], v[12:13], -v[4:5]
	v_mul_f64 v[2:3], v[8:9], s[0:1]
	v_mul_f64 v[4:5], v[4:5], s[0:1]
	v_mov_b32_e32 v8, s3
	v_addc_co_u32_e32 v15, vcc, v7, v8, vcc
	global_store_dwordx4 v[14:15], v[2:5], off
	global_load_dwordx4 v[2:5], v235, s[12:13] offset:1152
	ds_read_b128 v[6:9], v221 offset:1152
	ds_read_b128 v[10:13], v221 offset:1440
	s_waitcnt vmcnt(0) lgkmcnt(1)
	v_mul_f64 v[16:17], v[8:9], v[4:5]
	v_mul_f64 v[4:5], v[6:7], v[4:5]
	v_fma_f64 v[6:7], v[6:7], v[2:3], v[16:17]
	v_fma_f64 v[4:5], v[2:3], v[8:9], -v[4:5]
	v_mul_f64 v[2:3], v[6:7], s[0:1]
	v_mul_f64 v[4:5], v[4:5], s[0:1]
	v_mov_b32_e32 v7, s3
	v_add_co_u32_e32 v6, vcc, s2, v14
	v_addc_co_u32_e32 v7, vcc, v15, v7, vcc
	v_add_co_u32_e32 v14, vcc, s2, v6
	global_store_dwordx4 v[6:7], v[2:5], off
	global_load_dwordx4 v[2:5], v235, s[12:13] offset:1440
	;; [unrolled: 26-line block ×6, first 2 shown]
	s_waitcnt vmcnt(0) lgkmcnt(0)
	v_mul_f64 v[8:9], v[12:13], v[4:5]
	v_mul_f64 v[4:5], v[10:11], v[4:5]
	v_fma_f64 v[8:9], v[10:11], v[2:3], v[8:9]
	v_fma_f64 v[4:5], v[2:3], v[12:13], -v[4:5]
	v_mul_f64 v[2:3], v[8:9], s[0:1]
	v_mul_f64 v[4:5], v[4:5], s[0:1]
	v_mov_b32_e32 v8, s3
	v_addc_co_u32_e32 v15, vcc, v7, v8, vcc
	global_store_dwordx4 v[14:15], v[2:5], off
	global_load_dwordx4 v[2:5], v235, s[12:13] offset:4032
	ds_read_b128 v[6:9], v221 offset:4032
	ds_read_b128 v[10:13], v221 offset:4320
	s_waitcnt vmcnt(0) lgkmcnt(1)
	v_mul_f64 v[16:17], v[8:9], v[4:5]
	v_mul_f64 v[4:5], v[6:7], v[4:5]
	v_fma_f64 v[6:7], v[6:7], v[2:3], v[16:17]
	v_fma_f64 v[4:5], v[2:3], v[8:9], -v[4:5]
	v_add_co_u32_e32 v8, vcc, s12, v235
	v_addc_co_u32_e32 v9, vcc, 0, v18, vcc
	v_mov_b32_e32 v16, s3
	v_mul_f64 v[2:3], v[6:7], s[0:1]
	v_mul_f64 v[4:5], v[4:5], s[0:1]
	v_add_co_u32_e32 v6, vcc, s6, v8
	v_addc_co_u32_e32 v7, vcc, 0, v9, vcc
	v_add_co_u32_e32 v8, vcc, s2, v14
	v_addc_co_u32_e32 v9, vcc, v15, v16, vcc
	global_store_dwordx4 v[8:9], v[2:5], off
	global_load_dwordx4 v[2:5], v[6:7], off offset:224
	s_waitcnt vmcnt(0) lgkmcnt(0)
	v_mul_f64 v[6:7], v[12:13], v[4:5]
	v_mul_f64 v[4:5], v[10:11], v[4:5]
	v_fma_f64 v[6:7], v[10:11], v[2:3], v[6:7]
	v_fma_f64 v[4:5], v[2:3], v[12:13], -v[4:5]
	v_or_b32_e32 v12, 0x120, v255
	v_lshlrev_b32_e32 v10, 4, v12
	v_mul_f64 v[2:3], v[6:7], s[0:1]
	v_mul_f64 v[4:5], v[4:5], s[0:1]
	v_mov_b32_e32 v7, s3
	v_add_co_u32_e32 v6, vcc, s2, v8
	v_addc_co_u32_e32 v7, vcc, v9, v7, vcc
	global_store_dwordx4 v[6:7], v[2:5], off
	global_load_dwordx4 v[2:5], v10, s[12:13]
	ds_read_b128 v[6:9], v221 offset:4608
	s_waitcnt vmcnt(0) lgkmcnt(0)
	v_mul_f64 v[10:11], v[8:9], v[4:5]
	v_mul_f64 v[4:5], v[6:7], v[4:5]
	v_fma_f64 v[6:7], v[6:7], v[2:3], v[10:11]
	v_fma_f64 v[4:5], v[2:3], v[8:9], -v[4:5]
	v_mad_u64_u32 v[8:9], s[2:3], s4, v12, 0
	v_mov_b32_e32 v2, v9
	v_mad_u64_u32 v[9:10], s[2:3], s5, v12, v[2:3]
	v_mul_f64 v[2:3], v[6:7], s[0:1]
	v_mul_f64 v[4:5], v[4:5], s[0:1]
	v_lshlrev_b64 v[6:7], 4, v[8:9]
	v_add_co_u32_e32 v0, vcc, v0, v6
	v_addc_co_u32_e32 v1, vcc, v1, v7, vcc
	global_store_dwordx4 v[0:1], v[2:5], off
.LBB0_23:
	s_endpgm
	.section	.rodata,"a",@progbits
	.p2align	6, 0x0
	.amdhsa_kernel bluestein_single_fwd_len306_dim1_dp_op_CI_CI
		.amdhsa_group_segment_fixed_size 34272
		.amdhsa_private_segment_fixed_size 568
		.amdhsa_kernarg_size 104
		.amdhsa_user_sgpr_count 6
		.amdhsa_user_sgpr_private_segment_buffer 1
		.amdhsa_user_sgpr_dispatch_ptr 0
		.amdhsa_user_sgpr_queue_ptr 0
		.amdhsa_user_sgpr_kernarg_segment_ptr 1
		.amdhsa_user_sgpr_dispatch_id 0
		.amdhsa_user_sgpr_flat_scratch_init 0
		.amdhsa_user_sgpr_private_segment_size 0
		.amdhsa_uses_dynamic_stack 0
		.amdhsa_system_sgpr_private_segment_wavefront_offset 1
		.amdhsa_system_sgpr_workgroup_id_x 1
		.amdhsa_system_sgpr_workgroup_id_y 0
		.amdhsa_system_sgpr_workgroup_id_z 0
		.amdhsa_system_sgpr_workgroup_info 0
		.amdhsa_system_vgpr_workitem_id 0
		.amdhsa_next_free_vgpr 256
		.amdhsa_next_free_sgpr 68
		.amdhsa_reserve_vcc 1
		.amdhsa_reserve_flat_scratch 0
		.amdhsa_float_round_mode_32 0
		.amdhsa_float_round_mode_16_64 0
		.amdhsa_float_denorm_mode_32 3
		.amdhsa_float_denorm_mode_16_64 3
		.amdhsa_dx10_clamp 1
		.amdhsa_ieee_mode 1
		.amdhsa_fp16_overflow 0
		.amdhsa_exception_fp_ieee_invalid_op 0
		.amdhsa_exception_fp_denorm_src 0
		.amdhsa_exception_fp_ieee_div_zero 0
		.amdhsa_exception_fp_ieee_overflow 0
		.amdhsa_exception_fp_ieee_underflow 0
		.amdhsa_exception_fp_ieee_inexact 0
		.amdhsa_exception_int_div_zero 0
	.end_amdhsa_kernel
	.text
.Lfunc_end0:
	.size	bluestein_single_fwd_len306_dim1_dp_op_CI_CI, .Lfunc_end0-bluestein_single_fwd_len306_dim1_dp_op_CI_CI
                                        ; -- End function
	.section	.AMDGPU.csdata,"",@progbits
; Kernel info:
; codeLenInByte = 25720
; NumSgprs: 72
; NumVgprs: 256
; ScratchSize: 568
; MemoryBound: 0
; FloatMode: 240
; IeeeMode: 1
; LDSByteSize: 34272 bytes/workgroup (compile time only)
; SGPRBlocks: 8
; VGPRBlocks: 63
; NumSGPRsForWavesPerEU: 72
; NumVGPRsForWavesPerEU: 256
; Occupancy: 1
; WaveLimiterHint : 1
; COMPUTE_PGM_RSRC2:SCRATCH_EN: 1
; COMPUTE_PGM_RSRC2:USER_SGPR: 6
; COMPUTE_PGM_RSRC2:TRAP_HANDLER: 0
; COMPUTE_PGM_RSRC2:TGID_X_EN: 1
; COMPUTE_PGM_RSRC2:TGID_Y_EN: 0
; COMPUTE_PGM_RSRC2:TGID_Z_EN: 0
; COMPUTE_PGM_RSRC2:TIDIG_COMP_CNT: 0
	.type	__hip_cuid_fe19466da78d647e,@object ; @__hip_cuid_fe19466da78d647e
	.section	.bss,"aw",@nobits
	.globl	__hip_cuid_fe19466da78d647e
__hip_cuid_fe19466da78d647e:
	.byte	0                               ; 0x0
	.size	__hip_cuid_fe19466da78d647e, 1

	.ident	"AMD clang version 19.0.0git (https://github.com/RadeonOpenCompute/llvm-project roc-6.4.0 25133 c7fe45cf4b819c5991fe208aaa96edf142730f1d)"
	.section	".note.GNU-stack","",@progbits
	.addrsig
	.addrsig_sym __hip_cuid_fe19466da78d647e
	.amdgpu_metadata
---
amdhsa.kernels:
  - .args:
      - .actual_access:  read_only
        .address_space:  global
        .offset:         0
        .size:           8
        .value_kind:     global_buffer
      - .actual_access:  read_only
        .address_space:  global
        .offset:         8
        .size:           8
        .value_kind:     global_buffer
      - .actual_access:  read_only
        .address_space:  global
        .offset:         16
        .size:           8
        .value_kind:     global_buffer
      - .actual_access:  read_only
        .address_space:  global
        .offset:         24
        .size:           8
        .value_kind:     global_buffer
      - .actual_access:  read_only
        .address_space:  global
        .offset:         32
        .size:           8
        .value_kind:     global_buffer
      - .offset:         40
        .size:           8
        .value_kind:     by_value
      - .address_space:  global
        .offset:         48
        .size:           8
        .value_kind:     global_buffer
      - .address_space:  global
        .offset:         56
        .size:           8
        .value_kind:     global_buffer
      - .address_space:  global
        .offset:         64
        .size:           8
        .value_kind:     global_buffer
      - .address_space:  global
        .offset:         72
        .size:           8
        .value_kind:     global_buffer
      - .offset:         80
        .size:           4
        .value_kind:     by_value
      - .address_space:  global
        .offset:         88
        .size:           8
        .value_kind:     global_buffer
      - .address_space:  global
        .offset:         96
        .size:           8
        .value_kind:     global_buffer
    .group_segment_fixed_size: 34272
    .kernarg_segment_align: 8
    .kernarg_segment_size: 104
    .language:       OpenCL C
    .language_version:
      - 2
      - 0
    .max_flat_workgroup_size: 238
    .name:           bluestein_single_fwd_len306_dim1_dp_op_CI_CI
    .private_segment_fixed_size: 568
    .sgpr_count:     72
    .sgpr_spill_count: 0
    .symbol:         bluestein_single_fwd_len306_dim1_dp_op_CI_CI.kd
    .uniform_work_group_size: 1
    .uses_dynamic_stack: false
    .vgpr_count:     256
    .vgpr_spill_count: 163
    .wavefront_size: 64
amdhsa.target:   amdgcn-amd-amdhsa--gfx906
amdhsa.version:
  - 1
  - 2
...

	.end_amdgpu_metadata
